;; amdgpu-corpus repo=ROCm/rocFFT kind=compiled arch=gfx1201 opt=O3
	.text
	.amdgcn_target "amdgcn-amd-amdhsa--gfx1201"
	.amdhsa_code_object_version 6
	.protected	bluestein_single_fwd_len187_dim1_half_op_CI_CI ; -- Begin function bluestein_single_fwd_len187_dim1_half_op_CI_CI
	.globl	bluestein_single_fwd_len187_dim1_half_op_CI_CI
	.p2align	8
	.type	bluestein_single_fwd_len187_dim1_half_op_CI_CI,@function
bluestein_single_fwd_len187_dim1_half_op_CI_CI: ; @bluestein_single_fwd_len187_dim1_half_op_CI_CI
; %bb.0:
	s_load_b128 s[4:7], s[0:1], 0x28
	v_mul_u32_u24_e32 v1, 0xf10, v0
	s_mov_b32 s2, exec_lo
	s_delay_alu instid0(VALU_DEP_1) | instskip(NEXT) | instid1(VALU_DEP_1)
	v_lshrrev_b32_e32 v1, 16, v1
	v_mad_co_u64_u32 v[8:9], null, ttmp9, 7, v[1:2]
	v_mov_b32_e32 v9, 0
	s_wait_kmcnt 0x0
	s_delay_alu instid0(VALU_DEP_1)
	v_cmpx_gt_u64_e64 s[4:5], v[8:9]
	s_cbranch_execz .LBB0_15
; %bb.1:
	v_mul_hi_u32 v2, 0x24924925, v8
	v_mul_lo_u16 v1, v1, 17
	s_clause 0x1
	s_load_b64 s[12:13], s[0:1], 0x0
	s_load_b64 s[14:15], s[0:1], 0x38
	s_delay_alu instid0(VALU_DEP_1) | instskip(NEXT) | instid1(VALU_DEP_3)
	v_sub_nc_u16 v0, v0, v1
	v_sub_nc_u32_e32 v3, v8, v2
	s_delay_alu instid0(VALU_DEP_2) | instskip(SKIP_1) | instid1(VALU_DEP_3)
	v_and_b32_e32 v29, 0xffff, v0
	v_cmp_gt_u16_e32 vcc_lo, 11, v0
	v_lshrrev_b32_e32 v3, 1, v3
	s_delay_alu instid0(VALU_DEP_3) | instskip(SKIP_1) | instid1(VALU_DEP_3)
	v_lshlrev_b32_e32 v28, 2, v29
	v_or_b32_e32 v27, 0xb0, v29
	v_add_nc_u32_e32 v2, v3, v2
	s_delay_alu instid0(VALU_DEP_1) | instskip(NEXT) | instid1(VALU_DEP_1)
	v_lshrrev_b32_e32 v2, 2, v2
	v_mul_lo_u32 v2, v2, 7
	s_delay_alu instid0(VALU_DEP_1) | instskip(NEXT) | instid1(VALU_DEP_1)
	v_sub_nc_u32_e32 v1, v8, v2
	v_mul_u32_u24_e32 v13, 0xbb, v1
	s_delay_alu instid0(VALU_DEP_1)
	v_lshlrev_b32_e32 v31, 2, v13
	s_and_saveexec_b32 s3, vcc_lo
	s_cbranch_execz .LBB0_3
; %bb.2:
	s_load_b64 s[4:5], s[0:1], 0x18
	s_wait_kmcnt 0x0
	s_load_b128 s[8:11], s[4:5], 0x0
	s_wait_kmcnt 0x0
	v_mad_co_u64_u32 v[0:1], null, s10, v8, 0
	v_mad_co_u64_u32 v[2:3], null, s8, v29, 0
	;; [unrolled: 1-line block ×3, first 2 shown]
	s_mul_u64 s[4:5], s[8:9], 44
	s_delay_alu instid0(VALU_DEP_2) | instskip(NEXT) | instid1(VALU_DEP_2)
	v_mad_co_u64_u32 v[6:7], null, s11, v8, v[1:2]
	v_mad_co_u64_u32 v[9:10], null, s9, v29, v[3:4]
	s_clause 0x7
	global_load_b32 v7, v28, s[12:13]
	global_load_b32 v12, v28, s[12:13] offset:44
	global_load_b32 v14, v28, s[12:13] offset:88
	;; [unrolled: 1-line block ×7, first 2 shown]
	v_mad_co_u64_u32 v[10:11], null, s9, v27, v[5:6]
	v_mov_b32_e32 v1, v6
	v_mov_b32_e32 v3, v9
	s_clause 0x7
	global_load_b32 v6, v28, s[12:13] offset:352
	global_load_b32 v11, v28, s[12:13] offset:396
	;; [unrolled: 1-line block ×8, first 2 shown]
	v_lshlrev_b64_e32 v[0:1], 2, v[0:1]
	v_mov_b32_e32 v5, v10
	v_lshlrev_b64_e32 v[2:3], 2, v[2:3]
	s_delay_alu instid0(VALU_DEP_3) | instskip(NEXT) | instid1(VALU_DEP_1)
	v_add_co_u32 v10, s2, s6, v0
	v_add_co_ci_u32_e64 v25, s2, s7, v1, s2
	s_delay_alu instid0(VALU_DEP_4) | instskip(NEXT) | instid1(VALU_DEP_3)
	v_lshlrev_b64_e32 v[0:1], 2, v[4:5]
	v_add_co_u32 v2, s2, v10, v2
	s_wait_alu 0xf1ff
	s_delay_alu instid0(VALU_DEP_3) | instskip(NEXT) | instid1(VALU_DEP_3)
	v_add_co_ci_u32_e64 v3, s2, v25, v3, s2
	v_add_co_u32 v0, s2, v10, v0
	s_wait_alu 0xf1ff
	v_add_co_ci_u32_e64 v1, s2, v25, v1, s2
	s_wait_alu 0xfffe
	v_add_co_u32 v4, s2, v2, s4
	s_wait_alu 0xf1ff
	v_add_co_ci_u32_e64 v5, s2, s5, v3, s2
	global_load_b32 v10, v[2:3], off
	global_load_b32 v25, v28, s[12:13] offset:660
	s_clause 0x1
	global_load_b32 v26, v[0:1], off
	global_load_b32 v30, v[4:5], off
	v_add_co_u32 v0, s2, v4, s4
	s_wait_alu 0xf1ff
	v_add_co_ci_u32_e64 v1, s2, s5, v5, s2
	s_delay_alu instid0(VALU_DEP_2) | instskip(SKIP_1) | instid1(VALU_DEP_2)
	v_add_co_u32 v2, s2, v0, s4
	s_wait_alu 0xf1ff
	v_add_co_ci_u32_e64 v3, s2, s5, v1, s2
	global_load_b32 v4, v[0:1], off
	v_add_co_u32 v0, s2, v2, s4
	s_wait_alu 0xf1ff
	v_add_co_ci_u32_e64 v1, s2, s5, v3, s2
	s_clause 0x1
	global_load_b32 v5, v[2:3], off
	global_load_b32 v32, v[0:1], off
	v_add_co_u32 v0, s2, v0, s4
	s_wait_alu 0xf1ff
	v_add_co_ci_u32_e64 v1, s2, s5, v1, s2
	s_delay_alu instid0(VALU_DEP_2) | instskip(SKIP_1) | instid1(VALU_DEP_2)
	v_add_co_u32 v2, s2, v0, s4
	s_wait_alu 0xf1ff
	v_add_co_ci_u32_e64 v3, s2, s5, v1, s2
	global_load_b32 v33, v[0:1], off
	global_load_b32 v34, v[2:3], off
	v_add_co_u32 v0, s2, v2, s4
	s_wait_alu 0xf1ff
	v_add_co_ci_u32_e64 v1, s2, s5, v3, s2
	s_delay_alu instid0(VALU_DEP_2) | instskip(SKIP_1) | instid1(VALU_DEP_2)
	v_add_co_u32 v2, s2, v0, s4
	s_wait_alu 0xf1ff
	v_add_co_ci_u32_e64 v3, s2, s5, v1, s2
	global_load_b32 v35, v[0:1], off
	v_add_co_u32 v0, s2, v2, s4
	s_wait_alu 0xf1ff
	v_add_co_ci_u32_e64 v1, s2, s5, v3, s2
	global_load_b32 v36, v[2:3], off
	global_load_b32 v37, v[0:1], off
	v_add_co_u32 v0, s2, v0, s4
	s_wait_alu 0xf1ff
	v_add_co_ci_u32_e64 v1, s2, s5, v1, s2
	s_delay_alu instid0(VALU_DEP_2) | instskip(SKIP_1) | instid1(VALU_DEP_2)
	v_add_co_u32 v2, s2, v0, s4
	s_wait_alu 0xf1ff
	v_add_co_ci_u32_e64 v3, s2, s5, v1, s2
	global_load_b32 v38, v[0:1], off
	v_add_co_u32 v0, s2, v2, s4
	s_wait_alu 0xf1ff
	v_add_co_ci_u32_e64 v1, s2, s5, v3, s2
	global_load_b32 v39, v[2:3], off
	;; [unrolled: 4-line block ×5, first 2 shown]
	global_load_b32 v1, v[2:3], off
	v_lshl_add_u32 v2, v29, 2, v31
	v_add_nc_u32_e32 v3, v31, v28
	s_wait_loadcnt 0x21
	v_lshrrev_b32_e32 v42, 16, v7
	s_wait_loadcnt 0x20
	v_lshrrev_b32_e32 v43, 16, v12
	;; [unrolled: 2-line block ×17, first 2 shown]
	v_mul_f16_e32 v59, v42, v10
	s_wait_loadcnt 0xf
	v_lshrrev_b32_e32 v61, 16, v26
	v_mul_f16_e32 v62, v57, v26
	s_wait_loadcnt 0xe
	v_mul_f16_e32 v63, v43, v30
	v_mul_f16_e32 v42, v42, v58
	v_fma_f16 v58, v7, v58, -v59
	v_lshrrev_b32_e32 v59, 16, v30
	v_mul_f16_e32 v57, v57, v61
	v_fma_f16 v61, v9, v61, -v62
	v_fmac_f16_e32 v42, v7, v10
	v_lshrrev_b32_e32 v60, 16, v25
	v_mul_f16_e32 v7, v43, v59
	s_wait_loadcnt 0xd
	v_lshrrev_b32_e32 v43, 16, v4
	v_fma_f16 v10, v12, v59, -v63
	v_mul_f16_e32 v59, v44, v4
	v_fmac_f16_e32 v57, v9, v26
	v_pack_b32_f16 v9, v42, v58
	v_fmac_f16_e32 v7, v12, v30
	v_mul_f16_e32 v12, v44, v43
	s_wait_loadcnt 0xc
	v_lshrrev_b32_e32 v30, 16, v5
	v_fma_f16 v26, v14, v43, -v59
	v_mul_f16_e32 v42, v45, v5
	ds_store_b32 v2, v9
	v_pack_b32_f16 v2, v7, v10
	v_fmac_f16_e32 v12, v14, v4
	v_mul_f16_e32 v4, v45, v30
	s_wait_loadcnt 0xb
	v_lshrrev_b32_e32 v7, 16, v32
	v_mul_f16_e32 v9, v46, v32
	v_fma_f16 v10, v15, v30, -v42
	v_pack_b32_f16 v12, v12, v26
	v_fmac_f16_e32 v4, v15, v5
	v_mul_f16_e32 v5, v46, v7
	v_fma_f16 v7, v16, v7, -v9
	s_wait_loadcnt 0xa
	v_lshrrev_b32_e32 v9, 16, v33
	v_mul_f16_e32 v14, v47, v33
	ds_store_2addr_b32 v3, v2, v12 offset0:11 offset1:22
	v_pack_b32_f16 v2, v4, v10
	v_fmac_f16_e32 v5, v16, v32
	v_mul_f16_e32 v4, v47, v9
	s_wait_loadcnt 0x9
	v_lshrrev_b32_e32 v10, 16, v34
	v_mul_f16_e32 v12, v48, v34
	v_fma_f16 v9, v17, v9, -v14
	v_pack_b32_f16 v5, v5, v7
	v_fmac_f16_e32 v4, v17, v33
	v_mul_f16_e32 v7, v48, v10
	v_fma_f16 v10, v18, v10, -v12
	s_wait_loadcnt 0x8
	v_lshrrev_b32_e32 v12, 16, v35
	v_mul_f16_e32 v14, v49, v35
	ds_store_2addr_b32 v3, v2, v5 offset0:33 offset1:44
	;; [unrolled: 15-line block ×3, first 2 shown]
	v_pack_b32_f16 v2, v4, v12
	v_fmac_f16_e32 v10, v6, v36
	v_mul_f16_e32 v4, v51, v9
	s_wait_loadcnt 0x5
	v_lshrrev_b32_e32 v6, 16, v38
	v_mul_f16_e32 v7, v52, v38
	v_fma_f16 v9, v11, v9, -v14
	v_pack_b32_f16 v5, v10, v5
	v_fmac_f16_e32 v4, v11, v37
	v_mul_f16_e32 v10, v52, v6
	v_fma_f16 v6, v20, v6, -v7
	s_wait_loadcnt 0x4
	v_lshrrev_b32_e32 v7, 16, v39
	v_mul_f16_e32 v11, v53, v39
	v_pack_b32_f16 v4, v4, v9
	v_fmac_f16_e32 v10, v20, v38
	s_wait_loadcnt 0x3
	v_lshrrev_b32_e32 v9, 16, v40
	v_mul_f16_e32 v12, v53, v7
	v_fma_f16 v7, v21, v7, -v11
	v_mul_f16_e32 v11, v54, v40
	v_pack_b32_f16 v6, v10, v6
	v_mul_f16_e32 v10, v54, v9
	s_wait_loadcnt 0x2
	v_lshrrev_b32_e32 v14, 16, v41
	s_wait_loadcnt 0x1
	v_lshrrev_b32_e32 v15, 16, v0
	v_fma_f16 v9, v22, v9, -v11
	v_mul_f16_e32 v11, v55, v41
	s_wait_loadcnt 0x0
	v_lshrrev_b32_e32 v17, 16, v1
	v_mul_f16_e32 v16, v55, v14
	v_mul_f16_e32 v18, v56, v15
	;; [unrolled: 1-line block ×3, first 2 shown]
	v_fma_f16 v11, v23, v14, -v11
	v_mul_f16_e32 v14, v56, v0
	v_mul_f16_e32 v20, v60, v17
	v_fmac_f16_e32 v12, v21, v39
	v_fmac_f16_e32 v10, v22, v40
	;; [unrolled: 1-line block ×3, first 2 shown]
	v_fma_f16 v14, v24, v15, -v14
	v_fmac_f16_e32 v18, v24, v0
	v_fma_f16 v0, v25, v17, -v19
	v_fmac_f16_e32 v20, v25, v1
	v_pack_b32_f16 v1, v12, v7
	v_pack_b32_f16 v7, v10, v9
	;; [unrolled: 1-line block ×6, first 2 shown]
	ds_store_2addr_b32 v3, v2, v5 offset0:77 offset1:88
	ds_store_2addr_b32 v3, v4, v6 offset0:99 offset1:110
	;; [unrolled: 1-line block ×5, first 2 shown]
.LBB0_3:
	s_or_b32 exec_lo, exec_lo, s3
	s_clause 0x1
	s_load_b64 s[2:3], s[0:1], 0x20
	s_load_b64 s[0:1], s[0:1], 0x8
	global_wb scope:SCOPE_SE
	s_wait_dscnt 0x0
	s_wait_kmcnt 0x0
	s_barrier_signal -1
	s_barrier_wait -1
	global_inv scope:SCOPE_SE
                                        ; implicit-def: $vgpr0
                                        ; implicit-def: $vgpr5
                                        ; implicit-def: $vgpr43
                                        ; implicit-def: $vgpr2
                                        ; implicit-def: $vgpr42
                                        ; implicit-def: $vgpr41
                                        ; implicit-def: $vgpr6
                                        ; implicit-def: $vgpr40
                                        ; implicit-def: $vgpr30
                                        ; implicit-def: $vgpr15
                                        ; implicit-def: $vgpr26
                                        ; implicit-def: $vgpr25
                                        ; implicit-def: $vgpr23
                                        ; implicit-def: $vgpr24
                                        ; implicit-def: $vgpr44
                                        ; implicit-def: $vgpr18
                                        ; implicit-def: $vgpr45
                                        ; implicit-def: $vgpr46
                                        ; implicit-def: $vgpr20
                                        ; implicit-def: $vgpr47
                                        ; implicit-def: $vgpr48
                                        ; implicit-def: $vgpr22
                                        ; implicit-def: $vgpr49
                                        ; implicit-def: $vgpr50
                                        ; implicit-def: $vgpr51
	s_and_saveexec_b32 s4, vcc_lo
	s_cbranch_execz .LBB0_5
; %bb.4:
	v_lshl_add_u32 v9, v13, 2, v28
	ds_load_2addr_b32 v[0:1], v9 offset1:11
	ds_load_2addr_b32 v[21:22], v9 offset0:22 offset1:33
	ds_load_2addr_b32 v[19:20], v9 offset0:44 offset1:55
	;; [unrolled: 1-line block ×7, first 2 shown]
	ds_load_b32 v23, v9 offset:704
	s_wait_dscnt 0x8
	v_lshrrev_b32_e32 v51, 16, v1
	s_wait_dscnt 0x7
	v_lshrrev_b32_e32 v50, 16, v21
	v_lshrrev_b32_e32 v49, 16, v22
	s_wait_dscnt 0x6
	v_lshrrev_b32_e32 v48, 16, v19
	;; [unrolled: 3-line block ×8, first 2 shown]
.LBB0_5:
	s_wait_alu 0xfffe
	s_or_b32 exec_lo, exec_lo, s4
	s_delay_alu instid0(VALU_DEP_1)
	v_sub_f16_e32 v98, v51, v24
	v_add_f16_e32 v52, v23, v1
	v_sub_f16_e32 v103, v50, v25
	v_add_f16_e32 v53, v16, v21
	v_sub_f16_e32 v108, v49, v26
	v_mul_f16_e32 v61, 0xb964, v98
	v_mul_f16_e32 v65, 0xbb29, v98
	;; [unrolled: 1-line block ×5, first 2 shown]
	v_fmamk_f16 v9, v52, 0x39e9, v61
	v_fmamk_f16 v10, v52, 0x3722, v65
	;; [unrolled: 1-line block ×3, first 2 shown]
	v_mul_f16_e32 v81, 0xbbb2, v98
	v_fmamk_f16 v11, v52, 0x2de8, v73
	v_add_f16_e32 v9, v9, v0
	v_add_f16_e32 v10, v10, v0
	v_mul_f16_e32 v76, 0xb1e1, v103
	v_add_f16_e32 v54, v15, v22
	v_mul_f16_e32 v64, 0xba62, v108
	v_add_f16_e32 v9, v32, v9
	v_fmamk_f16 v32, v53, 0xb8d2, v67
	v_fmamk_f16 v14, v52, 0xb461, v81
	v_add_f16_e32 v11, v11, v0
	v_mul_f16_e32 v86, 0x3836, v103
	v_fmamk_f16 v33, v53, 0xbbdd, v76
	v_add_f16_e32 v10, v32, v10
	v_fmamk_f16 v32, v54, 0xb8d2, v64
	v_mul_f16_e32 v80, 0x3bb2, v108
	v_sub_f16_e32 v113, v48, v30
	v_add_f16_e32 v14, v14, v0
	v_fmamk_f16 v34, v53, 0xbacd, v86
	v_add_f16_e32 v11, v33, v11
	v_mul_f16_e32 v68, 0x31e1, v108
	v_mul_f16_e32 v89, 0x3964, v108
	v_add_f16_e32 v9, v32, v9
	v_fmamk_f16 v32, v54, 0xb461, v80
	v_add_f16_e32 v55, v7, v19
	v_mul_f16_e32 v66, 0xb1e1, v113
	v_sub_f16_e32 v120, v47, v40
	v_add_f16_e32 v14, v34, v14
	v_fmamk_f16 v33, v54, 0xbbdd, v68
	v_fmamk_f16 v34, v54, 0x39e9, v89
	v_add_f16_e32 v11, v32, v11
	v_mul_f16_e32 v74, 0x3bb2, v113
	v_mul_f16_e32 v85, 0x35c8, v113
	v_fmamk_f16 v32, v55, 0xbbdd, v66
	v_add_f16_e32 v56, v6, v20
	v_mul_f16_e32 v69, 0x3836, v120
	v_add_f16_e32 v10, v33, v10
	v_add_f16_e32 v14, v34, v14
	v_mul_f16_e32 v97, 0xbb29, v113
	v_fmamk_f16 v33, v55, 0xb461, v74
	v_fmamk_f16 v34, v55, 0x3b76, v85
	v_add_f16_e32 v9, v32, v9
	v_fmamk_f16 v32, v56, 0xbacd, v69
	v_mul_f16_e32 v77, 0x3964, v120
	v_mul_f16_e32 v90, 0xbb29, v120
	v_sub_f16_e32 v126, v46, v41
	v_fmamk_f16 v35, v55, 0x3722, v97
	v_add_f16_e32 v10, v33, v10
	v_add_f16_e32 v11, v34, v11
	v_mul_f16_e32 v99, 0xb1e1, v120
	v_add_f16_e32 v9, v32, v9
	v_fmamk_f16 v32, v56, 0x39e9, v77
	v_fmamk_f16 v33, v56, 0x3722, v90
	v_add_f16_e32 v57, v3, v17
	v_mul_f16_e32 v75, 0x3bb2, v126
	v_mul_f16_e32 v83, 0xb5c8, v126
	v_sub_f16_e64 v132, v45, v42
	v_add_f16_e32 v14, v35, v14
	v_fmamk_f16 v34, v56, 0xbbdd, v99
	v_add_f16_e32 v10, v32, v10
	v_add_f16_e32 v11, v33, v11
	v_fmamk_f16 v32, v57, 0xb461, v75
	v_mul_f16_e32 v96, 0xb836, v126
	v_fmamk_f16 v33, v57, 0x3b76, v83
	v_mul_f16_e32 v111, 0x3bf7, v126
	v_add_f16_e32 v60, v2, v18
	v_mul_f16_e64 v78, 0x3b29, v132
	v_add_f16_e32 v14, v34, v14
	v_fmamk_f16 v34, v57, 0xbacd, v96
	v_add_f16_e32 v9, v32, v9
	v_add_f16_e32 v10, v33, v10
	v_fmamk_f16 v32, v57, 0x2de8, v111
	v_fmamk_f16 v33, v60, 0x3722, v78
	v_mul_f16_e64 v88, 0xbbf7, v132
	v_mul_f16_e64 v100, 0x3a62, v132
	v_sub_f16_e64 v137, v44, v43
	v_add_f16_e32 v11, v34, v11
	v_add_f16_e32 v14, v32, v14
	;; [unrolled: 1-line block ×3, first 2 shown]
	v_fmamk_f16 v32, v60, 0x2de8, v88
	v_fmamk_f16 v33, v60, 0xb8d2, v100
	v_mul_f16_e64 v116, 0xb5c8, v132
	v_add_f16_e32 v63, v5, v4
	v_mul_f16_e64 v84, 0x35c8, v137
	v_mul_f16_e64 v92, 0xb836, v137
	v_mul_f16_e32 v58, 0xb5c8, v98
	v_add_f16_e32 v32, v32, v10
	v_add_f16_e32 v11, v33, v11
	v_fmamk_f16 v10, v60, 0x3b76, v116
	v_fmamk_f16 v33, v63, 0x3b76, v84
	;; [unrolled: 1-line block ×3, first 2 shown]
	v_mul_f16_e64 v106, 0x3964, v137
	v_mul_f16_e64 v121, 0xba62, v137
	v_sub_f16_e64 v143, v1, v23
	v_fmamk_f16 v12, v52, 0x3b76, v58
	v_mul_f16_e32 v59, 0xb964, v103
	v_add_f16_e32 v14, v10, v14
	v_add_f16_e32 v10, v33, v9
	;; [unrolled: 1-line block ×3, first 2 shown]
	v_fmamk_f16 v32, v63, 0x39e9, v106
	v_fmamk_f16 v33, v63, 0xb8d2, v121
	v_add_f16_e32 v70, v24, v51
	v_mul_f16_e64 v93, 0xb5c8, v143
	v_sub_f16_e64 v153, v21, v16
	v_mul_f16_e64 v105, 0xb964, v143
	v_add_f16_e32 v34, v12, v0
	v_fmamk_f16 v35, v53, 0x39e9, v59
	v_add_f16_e32 v12, v32, v11
	v_add_f16_e32 v11, v33, v14
	v_lshrrev_b32_e32 v71, 16, v0
	v_fma_f16 v32, v70, 0x3b76, -v93
	v_add_f16_e32 v72, v25, v50
	v_mul_f16_e64 v117, 0xbb29, v143
	v_mul_f16_e64 v95, 0xb964, v153
	v_fma_f16 v33, v70, 0x39e9, -v105
	v_mul_f16_e64 v107, 0xbbf7, v153
	v_add_f16_e32 v14, v35, v34
	v_add_f16_e32 v32, v32, v71
	v_fma_f16 v34, v70, 0x3722, -v117
	v_fma_f16 v35, v72, 0x39e9, -v95
	v_mul_f16_e64 v118, 0xba62, v153
	v_add_f16_e32 v33, v33, v71
	v_fma_f16 v36, v72, 0x2de8, -v107
	v_mul_f16_e64 v133, 0xbbf7, v143
	v_mul_f16_e64 v148, 0xbbb2, v143
	v_add_f16_e32 v34, v34, v71
	v_fma_f16 v37, v72, 0xb8d2, -v118
	v_add_f16_e32 v32, v35, v32
	v_add_f16_e32 v33, v36, v33
	v_fma_f16 v35, v70, 0x2de8, -v133
	v_mul_f16_e64 v135, 0xb1e1, v153
	v_fma_f16 v36, v70, 0xb461, -v148
	v_mul_f16_e64 v168, 0xba62, v98
	v_mul_f16_e64 v150, 0x3836, v153
	v_add_f16_e32 v34, v37, v34
	v_add_f16_e32 v35, v35, v71
	v_fma_f16 v37, v72, 0xbbdd, -v135
	v_add_f16_e32 v36, v36, v71
	v_fma_f16 v38, 0xb8d2, v52, v168
	v_mul_f16_e64 v170, 0x3bb2, v103
	v_fma_f16 v39, v72, 0xbacd, -v150
	v_mul_f16_e64 v176, 0xba62, v143
	v_mul_f16_e32 v101, 0xbb29, v108
	v_sub_f16_e64 v154, v22, v15
	v_add_f16_e32 v35, v37, v35
	v_add_f16_e32 v37, v38, v0
	v_fma_f16 v38, 0xb461, v53, v170
	v_add_f16_e32 v36, v39, v36
	v_fma_f16 v39, v70, 0xb8d2, -v176
	v_mul_f16_e64 v180, 0x3bb2, v153
	v_fmamk_f16 v82, v54, 0x3722, v101
	v_add_f16_e32 v79, v26, v49
	v_mul_f16_e64 v115, 0xba62, v154
	v_add_f16_e32 v37, v38, v37
	v_add_f16_e32 v38, v39, v71
	v_fma_f16 v39, v72, 0xb461, -v180
	v_mul_f16_e64 v104, 0xbb29, v154
	v_add_f16_e32 v14, v82, v14
	v_mul_f16_e64 v125, 0x31e1, v154
	v_fma_f16 v82, v79, 0xb8d2, -v115
	v_mul_f16_e64 v165, 0x3964, v154
	v_add_f16_e32 v38, v39, v38
	v_fma_f16 v39, v79, 0x3722, -v104
	v_mul_f16_e64 v140, 0x3bb2, v154
	v_fma_f16 v87, v79, 0xbbdd, -v125
	v_add_f16_e32 v33, v82, v33
	v_fma_f16 v82, v79, 0x39e9, -v165
	v_mul_f16_e64 v187, 0xb5c8, v154
	v_sub_f16_e64 v155, v19, v7
	v_add_f16_e32 v32, v39, v32
	v_fma_f16 v39, v79, 0xb461, -v140
	v_add_f16_e32 v34, v87, v34
	v_mul_f16_e64 v181, 0xb5c8, v108
	v_add_f16_e32 v36, v82, v36
	v_fma_f16 v87, v79, 0x3b76, -v187
	v_add_f16_e32 v82, v30, v48
	v_mul_f16_e64 v110, 0xbbf7, v155
	v_add_f16_e32 v35, v39, v35
	v_fma_f16 v39, 0x3b76, v54, v181
	v_mul_f16_e32 v109, 0xbbf7, v113
	v_add_f16_e32 v38, v87, v38
	v_fma_f16 v87, v82, 0x2de8, -v110
	v_mul_f16_e64 v130, 0x3bb2, v155
	v_mul_f16_e64 v146, 0x35c8, v155
	v_add_f16_e32 v37, v39, v37
	v_fmamk_f16 v39, v55, 0x2de8, v109
	v_mul_f16_e64 v123, 0xb1e1, v155
	v_add_f16_e32 v32, v87, v32
	v_fma_f16 v87, v82, 0xb461, -v130
	v_fma_f16 v91, v82, 0x3b76, -v146
	v_mul_f16_e64 v182, 0xb836, v113
	v_sub_f16_e64 v157, v20, v6
	v_add_f16_e32 v14, v39, v14
	v_fma_f16 v39, v82, 0xbbdd, -v123
	v_mul_f16_e64 v178, 0xbb29, v155
	v_add_f16_e32 v34, v87, v34
	v_add_f16_e32 v35, v91, v35
	v_fma_f16 v91, 0xbacd, v55, v182
	v_add_f16_e32 v87, v40, v47
	v_mul_f16_e64 v114, 0xbbb2, v157
	v_add_f16_e32 v33, v39, v33
	v_fma_f16 v39, v82, 0x3722, -v178
	v_mul_f16_e64 v190, 0xb836, v155
	v_add_f16_e32 v37, v91, v37
	v_fma_f16 v91, v87, 0xb461, -v114
	;; [unrolled: 3-line block ×4, first 2 shown]
	v_mul_f16_e64 v185, 0x3bf7, v120
	v_mul_f16_e32 v112, 0xbbb2, v120
	v_add_f16_e32 v38, v39, v38
	v_fma_f16 v39, v87, 0xbacd, -v129
	v_mul_f16_e64 v158, 0xbb29, v157
	v_add_f16_e32 v34, v91, v34
	v_fma_f16 v91, 0x2de8, v56, v185
	v_sub_f16_e64 v161, v17, v3
	v_fmamk_f16 v94, v56, 0xb461, v112
	v_mul_f16_e64 v183, 0xb1e1, v157
	v_add_f16_e32 v33, v39, v33
	v_fma_f16 v39, v87, 0x3722, -v158
	v_mul_f16_e64 v192, 0x3bf7, v157
	v_add_f16_e32 v37, v91, v37
	v_add_f16_e32 v91, v41, v46
	v_mul_f16_e64 v138, 0xb5c8, v161
	v_add_f16_e32 v14, v94, v14
	v_fma_f16 v94, v87, 0xbbdd, -v183
	v_add_f16_e32 v35, v39, v35
	v_fma_f16 v39, v87, 0x2de8, -v192
	v_mul_f16_e32 v119, 0xba62, v126
	v_mul_f16_e64 v122, 0xba62, v161
	v_fma_f16 v124, v91, 0x3b76, -v138
	v_add_f16_e32 v36, v94, v36
	v_mul_f16_e64 v134, 0x3bb2, v161
	v_fmamk_f16 v94, v57, 0xb8d2, v119
	v_add_f16_e32 v38, v39, v38
	v_fma_f16 v39, v91, 0xb8d2, -v122
	v_mul_f16_e64 v169, 0xb836, v161
	v_add_f16_e32 v34, v124, v34
	v_mul_f16_e64 v186, 0x3bf7, v161
	v_mul_f16_e64 v124, 0xb836, v132
	v_fma_f16 v102, v91, 0xb461, -v134
	v_add_f16_e32 v14, v94, v14
	v_add_f16_e32 v32, v39, v32
	v_fma_f16 v39, v91, 0xbacd, -v169
	v_mul_f16_e64 v189, 0xb964, v126
	v_mul_f16_e64 v195, 0xb964, v161
	v_fma_f16 v94, v91, 0x2de8, -v186
	v_fmamk_f16 v127, v60, 0xbacd, v124
	v_sub_f16_e64 v199, v18, v2
	v_add_f16_e32 v33, v102, v33
	v_add_f16_e32 v35, v39, v35
	v_fma_f16 v39, 0x39e9, v57, v189
	v_fma_f16 v102, v91, 0x39e9, -v195
	v_add_f16_e32 v36, v94, v36
	v_add_f16_e32 v14, v127, v14
	;; [unrolled: 1-line block ×3, first 2 shown]
	v_mul_f16_e64 v127, 0xb836, v199
	v_mul_f16_e64 v139, 0x3b29, v199
	;; [unrolled: 1-line block ×4, first 2 shown]
	v_add_f16_e32 v37, v39, v37
	v_add_f16_e32 v38, v102, v38
	v_mul_f16_e64 v179, 0x3a62, v199
	v_fma_f16 v39, v94, 0xbacd, -v127
	v_fma_f16 v102, v94, 0x3722, -v139
	;; [unrolled: 1-line block ×4, first 2 shown]
	v_sub_f16_e64 v198, v4, v5
	v_fma_f16 v131, v94, 0xb8d2, -v179
	v_add_f16_e32 v32, v39, v32
	v_add_f16_e32 v39, v102, v33
	v_add_f16_e64 v144, v128, v34
	v_add_f16_e64 v147, v141, v36
	v_mul_f16_e64 v193, 0xb1e1, v132
	v_mul_f16_e64 v128, 0xb1e1, v137
	v_add_f16_e32 v102, v43, v44
	v_mul_f16_e64 v141, 0x35c8, v198
	v_add_f16_e64 v145, v131, v35
	v_mul_f16_e64 v196, 0xb1e1, v199
	v_mul_f16_e64 v131, 0xb1e1, v198
	v_fma_f16 v33, 0xbbdd, v60, v193
	v_fma_f16 v35, 0xbbdd, v63, v128
	v_fma_f16 v149, v102, 0x3b76, -v141
	v_fma_f16 v34, v94, 0xbbdd, -v196
	;; [unrolled: 1-line block ×3, first 2 shown]
	v_add_f16_e64 v151, v33, v37
	v_add_f16_e32 v33, v35, v14
	v_add_f16_e64 v35, v149, v39
	v_mul_f16_e64 v149, 0xb836, v198
	v_mul_f16_e64 v184, 0x3964, v198
	;; [unrolled: 1-line block ×5, first 2 shown]
	v_add_f16_e64 v152, v34, v38
	v_add_f16_e32 v34, v36, v32
	v_fma_f16 v14, v102, 0xbacd, -v149
	v_fma_f16 v32, v102, 0x39e9, -v184
	;; [unrolled: 1-line block ×4, first 2 shown]
	v_fma_f16 v156, 0x3722, v63, v194
	v_add_f16_e64 v36, v14, v144
	v_add_f16_e64 v37, v32, v145
	;; [unrolled: 1-line block ×5, first 2 shown]
	v_mul_lo_u16 v32, v29, 17
	global_wb scope:SCOPE_SE
	s_barrier_signal -1
	s_barrier_wait -1
	global_inv scope:SCOPE_SE
	s_and_saveexec_b32 s4, vcc_lo
	s_cbranch_execz .LBB0_7
; %bb.6:
	v_mul_f16_e64 v173, 0xb1e1, v143
	v_mul_f16_e64 v172, 0xb1e1, v98
	v_mul_f16_e64 v177, 0x35c8, v153
	v_mul_f16_e64 v171, 0x35c8, v103
	v_mul_f16_e64 v174, 0xb836, v154
	v_fma_f16 v145, 0xbbdd, v70, v173
	v_fma_f16 v147, v52, 0xbbdd, -v172
	v_mul_f16_e64 v144, 0xb836, v108
	v_fma_f16 v151, 0x3b76, v72, v177
	v_fma_f16 v156, v53, 0x3b76, -v171
	v_add_f16_e64 v152, v145, v71
	v_add_f16_e64 v147, v147, v0
	v_mul_f16_e64 v175, 0x3964, v155
	v_mul_f16_e64 v145, 0x3964, v113
	v_fma_f16 v159, 0xbacd, v79, v174
	v_add_f16_e64 v151, v151, v152
	v_fma_f16 v152, v54, 0xbacd, -v144
	v_add_f16_e64 v147, v156, v147
	v_fma_f16 v156, 0x39e9, v82, v175
	v_fma_f16 v160, v55, 0x39e9, -v145
	v_add_f16_e64 v159, v159, v151
	v_mul_f16_e64 v151, 0xba62, v157
	v_add_f16_e64 v152, v152, v147
	v_mul_f16_e64 v147, 0xba62, v120
	v_mul_f16_e64 v153, 0x3b29, v153
	v_add_f16_e64 v156, v156, v159
	v_fma_f16 v162, 0xb8d2, v87, v151
	v_add_f16_e64 v159, v160, v152
	v_fma_f16 v163, v56, 0xb8d2, -v147
	v_mul_f16_e64 v152, 0xb836, v143
	v_mul_f16_e64 v160, 0x3b29, v161
	v_add_f16_e64 v143, v162, v156
	v_fma_f16 v166, 0x3722, v72, v153
	v_add_f16_e64 v162, v163, v159
	v_fma_f16 v156, 0xbacd, v70, v152
	v_fma_f16 v164, 0x3722, v91, v160
	v_mul_f16_e64 v159, 0x3b29, v126
	v_mul_f16_e64 v163, 0xbbb2, v199
	;; [unrolled: 1-line block ×3, first 2 shown]
	v_add_f16_e64 v156, v156, v71
	v_add_f16_e64 v143, v164, v143
	v_fma_f16 v164, v57, 0x3722, -v159
	v_fma_f16 v167, 0xb461, v94, v163
	v_fma_f16 v200, 0x2de8, v79, v154
	v_add_f16_e64 v166, v166, v156
	v_mul_f16_e64 v156, 0x3a62, v155
	v_add_f16_e64 v201, v164, v162
	v_mul_f16_e64 v162, 0xbbb2, v132
	v_add_f16_e64 v143, v167, v143
	v_add_f16_e64 v166, v200, v166
	v_fma_f16 v200, 0xb8d2, v82, v156
	v_mul_f16_e64 v155, 0xb5c8, v157
	v_fma_f16 v202, v60, 0xb461, -v162
	v_mul_f16_e64 v167, 0x3bf7, v198
	v_mul_f16_e64 v164, 0x3bf7, v137
	v_add_f16_e64 v166, v200, v166
	v_fma_f16 v200, 0x3b76, v87, v155
	v_mul_f16_e64 v157, 0xb1e1, v161
	v_add_f16_e64 v161, v202, v201
	v_fma_f16 v201, 0x2de8, v102, v167
	v_fma_f16 v202, v63, 0x2de8, -v164
	v_add_f16_e64 v200, v200, v166
	v_mul_f16_e64 v166, 0xb836, v98
	v_fma_f16 v203, 0xbbdd, v91, v157
	v_add_f16_e64 v143, v201, v143
	v_mul_f16_e64 v201, 0xb8d2, v70
	v_add_f16_e64 v98, v202, v161
	v_mul_f16_e64 v161, 0x3964, v199
	v_fma_f16 v199, v52, 0xbacd, -v166
	v_mul_f16_e32 v103, 0x3b29, v103
	v_mul_f16_e64 v202, 0xb461, v72
	v_add_f16_e64 v176, v176, v201
	v_add_f16_e64 v200, v203, v200
	v_fma_f16 v201, 0x39e9, v94, v161
	v_add_f16_e64 v199, v199, v0
	v_fma_f16 v203, v53, 0x3722, -v103
	v_add_f16_e64 v180, v180, v202
	v_add_f16_e64 v202, v176, v71
	v_mul_f16_e64 v176, 0xbbf7, v108
	v_mul_f16_e32 v108, 0x3b76, v79
	v_add_f16_e64 v200, v201, v200
	v_add_f16_e64 v199, v203, v199
	;; [unrolled: 1-line block ×3, first 2 shown]
	v_fma_f16 v202, v54, 0x2de8, -v176
	v_add_f16_e64 v108, v187, v108
	v_mul_f16_e64 v180, 0x3a62, v113
	v_mul_f16_e64 v187, 0xbacd, v82
	;; [unrolled: 1-line block ×3, first 2 shown]
	v_add_f16_e64 v198, v202, v199
	v_add_f16_e64 v108, v108, v201
	v_fma_f16 v199, v55, 0xb8d2, -v180
	v_add_f16_e64 v187, v190, v187
	v_mul_f16_e32 v120, 0xb5c8, v120
	v_mul_f16_e64 v201, 0x2de8, v87
	v_fma_f16 v190, 0xb461, v102, v113
	v_add_f16_e64 v198, v199, v198
	v_add_f16_e64 v187, v187, v108
	v_fma_f16 v199, v56, 0x3b76, -v120
	v_mul_f16_e32 v126, 0xb1e1, v126
	v_add_f16_e64 v192, v192, v201
	v_mul_f16_e64 v201, 0x39e9, v91
	v_add_f16_e64 v108, v190, v200
	v_add_f16_e64 v190, v199, v198
	v_fma_f16 v198, v57, 0xbbdd, -v126
	v_add_f16_e64 v187, v192, v187
	v_add_f16_e64 v192, v195, v201
	v_mul_f16_e64 v195, 0xb8d2, v52
	v_mul_f16_e64 v132, 0x3964, v132
	v_add_f16_e64 v190, v198, v190
	v_mul_f16_e64 v198, 0xbbdd, v94
	v_mul_f16_e64 v199, 0xb461, v53
	v_sub_f16_e64 v168, v195, v168
	v_fma_f16 v195, v60, 0x39e9, -v132
	v_add_f16_e64 v187, v192, v187
	v_add_f16_e64 v192, v196, v198
	v_sub_f16_e64 v170, v199, v170
	v_add_f16_e64 v168, v168, v0
	v_add_f16_e64 v190, v195, v190
	v_mul_f16_e64 v195, 0x3b76, v54
	v_mul_f16_e64 v196, 0x3722, v102
	v_add_f16_e64 v187, v192, v187
	v_add_f16_e64 v168, v170, v168
	v_mul_f16_e64 v137, 0xbbb2, v137
	v_sub_f16_e64 v170, v195, v181
	v_mul_f16_e64 v192, 0xb461, v70
	v_add_f16_e64 v181, v197, v196
	v_mul_f16_e64 v195, 0xbacd, v55
	v_fma_f16 v196, v63, 0xb461, -v137
	v_mul_f16_e64 v197, 0xbacd, v72
	v_add_f16_e64 v168, v170, v168
	v_add_f16_e64 v170, v148, v192
	v_sub_f16_e64 v182, v195, v182
	v_add_f16_e64 v148, v196, v190
	v_add_f16_e64 v190, v150, v197
	v_mul_f16_e64 v192, 0x2de8, v56
	v_add_f16_e64 v170, v170, v71
	v_add_f16_e64 v150, v181, v187
	v_mul_f16_e64 v181, 0x39e9, v79
	v_add_f16_e64 v168, v182, v168
	v_sub_f16_e64 v182, v192, v185
	v_add_f16_e64 v170, v190, v170
	v_mul_f16_e64 v185, 0x39e9, v57
	v_add_f16_e64 v165, v165, v181
	v_mul_f16_e64 v190, 0x2de8, v91
	;; [unrolled: 2-line block ×3, first 2 shown]
	v_sub_f16_e64 v185, v185, v189
	v_add_f16_e64 v165, v165, v170
	v_mul_f16_e64 v170, 0xbbdd, v60
	v_add_f16_e64 v186, v186, v190
	v_add_f16_e64 v178, v178, v182
	;; [unrolled: 1-line block ×3, first 2 shown]
	v_mul_f16_e64 v185, 0xbbdd, v87
	v_sub_f16_e64 v170, v170, v193
	v_mul_f16_e64 v190, 0x3b76, v94
	v_add_f16_e64 v165, v178, v165
	v_mul_f16_e64 v178, 0x3722, v63
	v_add_f16_e64 v183, v183, v185
	v_add_f16_e64 v168, v170, v168
	v_mul_f16_e64 v170, 0xb461, v52
	v_add_f16_e64 v188, v188, v190
	v_mul_f16_e64 v190, 0x2de8, v70
	;; [unrolled: 2-line block ×3, first 2 shown]
	v_sub_f16_e64 v81, v170, v81
	v_mul_f16_e64 v170, 0x3722, v70
	v_add_f16_e64 v133, v133, v190
	v_add_f16_e64 v165, v186, v165
	v_sub_f16_e64 v86, v183, v86
	v_add_f16_e32 v81, v81, v0
	v_mul_f16_e64 v186, 0x39e9, v54
	v_add_f16_e64 v133, v133, v71
	v_add_f16_e64 v165, v188, v165
	v_mul_f16_e64 v188, 0x3722, v55
	v_add_f16_e32 v81, v86, v81
	v_mul_f16_e32 v86, 0xb8d2, v102
	v_sub_f16_e64 v89, v186, v89
	v_mul_f16_e64 v183, 0x2de8, v52
	v_sub_f16_e64 v97, v188, v97
	v_mul_f16_e64 v185, 0x3722, v52
	v_add_f16_e64 v86, v191, v86
	v_add_f16_e32 v81, v89, v81
	v_sub_f16_e64 v73, v183, v73
	v_mul_f16_e64 v183, 0xb461, v54
	v_sub_f16_e64 v178, v178, v194
	v_add_f16_e64 v86, v86, v165
	v_mul_f16_e64 v165, 0xbbdd, v56
	v_add_f16_e32 v81, v97, v81
	v_mul_f16_e32 v97, 0xbbdd, v72
	v_add_f16_e32 v73, v73, v0
	v_sub_f16_e64 v80, v183, v80
	v_sub_f16_e64 v99, v165, v99
	v_mul_f16_e64 v165, 0x2de8, v57
	v_add_f16_e64 v97, v135, v97
	v_mul_f16_e64 v135, 0xbbdd, v53
	v_mul_f16_e64 v190, 0xb8d2, v72
	v_add_f16_e32 v81, v99, v81
	v_mul_f16_e32 v99, 0xb461, v79
	v_sub_f16_e64 v111, v165, v111
	v_add_f16_e64 v97, v97, v133
	v_sub_f16_e64 v76, v135, v76
	v_mul_f16_e64 v133, 0x3b76, v60
	v_add_f16_e64 v99, v140, v99
	v_add_f16_e32 v81, v111, v81
	v_mul_f16_e32 v111, 0x3b76, v82
	v_add_f16_e32 v73, v76, v73
	v_mul_f16_e32 v76, 0xb8d2, v94
	;; [unrolled: 2-line block ×3, first 2 shown]
	v_add_f16_e64 v111, v146, v111
	v_add_f16_e32 v73, v80, v73
	v_add_f16_e64 v76, v179, v76
	v_mul_f16_e32 v80, 0x39e9, v102
	v_sub_f16_e32 v99, v99, v121
	v_mul_f16_e32 v121, 0x3722, v87
	v_add_f16_e32 v97, v111, v97
	v_add_f16_e64 v117, v117, v170
	v_mul_f16_e64 v189, 0x39e9, v70
	v_add_f16_e64 v168, v178, v168
	v_add_f16_e64 v121, v158, v121
	v_mul_f16_e64 v158, 0xbacd, v91
	v_mul_f16_e64 v178, 0xb8d2, v53
	v_sub_f16_e64 v116, v133, v116
	v_mul_f16_e32 v111, 0xbbdd, v79
	v_add_f16_e32 v97, v121, v97
	v_add_f16_e64 v158, v169, v158
	v_add_f16_e64 v80, v184, v80
	;; [unrolled: 1-line block ×3, first 2 shown]
	v_add_f16_e32 v117, v117, v71
	v_sub_f16_e64 v65, v185, v65
	v_add_f16_e64 v97, v158, v97
	v_mul_f16_e64 v158, 0x3b76, v55
	v_mul_f16_e64 v188, 0x2de8, v72
	v_add_f16_e32 v81, v116, v81
	v_mul_f16_e32 v116, 0xbbdd, v54
	v_add_f16_e32 v76, v76, v97
	v_sub_f16_e64 v85, v158, v85
	v_mul_f16_e32 v97, 0x3722, v56
	v_mul_f16_e64 v158, 0xb461, v82
	v_add_f16_e32 v117, v118, v117
	v_add_f16_e32 v76, v80, v76
	;; [unrolled: 1-line block ×3, first 2 shown]
	v_sub_f16_e32 v90, v97, v90
	v_mul_f16_e32 v80, 0xbacd, v57
	v_add_f16_e32 v111, v125, v111
	v_sub_f16_e64 v67, v178, v67
	v_add_f16_e32 v65, v65, v0
	v_add_f16_e64 v105, v105, v189
	v_mul_f16_e64 v146, 0xb8d2, v79
	v_mul_f16_e64 v179, 0xb461, v55
	v_add_f16_e32 v73, v90, v73
	v_mul_f16_e64 v170, 0x39e9, v87
	v_sub_f16_e32 v80, v80, v96
	v_mul_f16_e32 v96, 0xb8d2, v60
	v_mul_f16_e32 v118, 0x39e9, v63
	v_add_f16_e32 v111, v111, v117
	v_add_f16_e64 v130, v130, v158
	v_add_f16_e32 v65, v67, v65
	v_sub_f16_e32 v68, v116, v68
	v_add_f16_e64 v107, v107, v188
	v_add_f16_e32 v105, v105, v71
	v_mul_f16_e64 v183, 0xbbdd, v82
	v_mul_f16_e32 v90, 0x39e9, v56
	v_add_f16_e32 v73, v80, v73
	v_sub_f16_e32 v96, v96, v100
	v_sub_f16_e32 v106, v118, v106
	v_mul_f16_e32 v118, 0x3b76, v91
	v_add_f16_e64 v111, v130, v111
	v_add_f16_e64 v136, v136, v170
	v_add_f16_e32 v65, v68, v65
	v_sub_f16_e64 v74, v179, v74
	v_add_f16_e32 v105, v107, v105
	v_add_f16_e64 v107, v115, v146
	v_add_f16_e32 v81, v99, v81
	v_mul_f16_e32 v99, 0xbacd, v87
	v_add_f16_e32 v73, v96, v73
	v_mul_f16_e32 v96, 0x3b76, v57
	v_mul_f16_e64 v170, 0x2de8, v94
	v_add_f16_e64 v111, v136, v111
	v_add_f16_e64 v115, v138, v118
	v_add_f16_e32 v65, v74, v65
	v_sub_f16_e32 v74, v90, v77
	v_add_f16_e32 v77, v107, v105
	v_add_f16_e64 v90, v123, v183
	v_mul_f16_e64 v182, 0x39e9, v52
	v_mul_f16_e32 v125, 0xb461, v91
	v_mul_f16_e64 v130, 0x2de8, v60
	v_mul_f16_e64 v179, 0xbacd, v102
	v_add_f16_e32 v105, v115, v111
	v_add_f16_e64 v107, v142, v170
	v_add_f16_e32 v65, v74, v65
	v_sub_f16_e32 v74, v96, v83
	v_add_f16_e32 v77, v90, v77
	v_add_f16_e64 v83, v129, v99
	v_mul_f16_e64 v187, 0x3b76, v70
	v_mul_f16_e32 v89, 0x2de8, v53
	v_mul_f16_e64 v178, 0x3722, v94
	v_mul_f16_e32 v68, 0xbacd, v63
	v_add_f16_e32 v90, v107, v105
	v_add_f16_e32 v65, v74, v65
	v_sub_f16_e64 v74, v130, v88
	v_add_f16_e32 v77, v83, v77
	v_add_f16_e64 v83, v134, v125
	v_add_f16_e64 v88, v149, v179
	v_sub_f16_e64 v61, v182, v61
	v_mul_f16_e64 v181, 0x3b76, v52
	v_mul_f16_e64 v191, 0x39e9, v72
	;; [unrolled: 1-line block ×3, first 2 shown]
	v_add_f16_e32 v65, v74, v65
	v_sub_f16_e32 v68, v68, v92
	v_add_f16_e32 v74, v83, v77
	v_add_f16_e64 v77, v139, v178
	v_add_f16_e32 v61, v61, v0
	v_sub_f16_e32 v62, v89, v62
	v_add_f16_e32 v83, v88, v90
	v_add_f16_e64 v88, v93, v187
	v_mul_f16_e64 v186, 0x39e9, v53
	v_mul_f16_e64 v140, 0x3722, v79
	;; [unrolled: 1-line block ×3, first 2 shown]
	v_add_f16_e32 v65, v68, v65
	v_add_f16_e32 v68, v77, v74
	;; [unrolled: 1-line block ×3, first 2 shown]
	v_sub_f16_e64 v62, v133, v64
	v_add_f16_e32 v64, v88, v71
	v_add_f16_e64 v74, v95, v191
	v_sub_f16_e64 v58, v181, v58
	v_mul_f16_e64 v165, 0x3722, v54
	v_mul_f16_e32 v121, 0x2de8, v82
	v_mul_f16_e32 v97, 0xbacd, v56
	v_add_f16_e32 v61, v62, v61
	v_sub_f16_e64 v62, v169, v66
	v_add_f16_e32 v64, v74, v64
	v_add_f16_e64 v66, v104, v140
	v_add_f16_e32 v58, v58, v0
	v_sub_f16_e64 v59, v186, v59
	v_mul_f16_e64 v135, 0x2de8, v55
	v_mul_f16_e32 v85, 0xb461, v87
	v_mul_f16_e32 v100, 0xb461, v57
	v_add_f16_e32 v61, v62, v61
	v_sub_f16_e32 v62, v97, v69
	v_add_f16_e32 v64, v66, v64
	v_add_f16_e32 v66, v110, v121
	;; [unrolled: 1-line block ×3, first 2 shown]
	v_sub_f16_e64 v59, v165, v101
	v_mul_f16_e64 v184, 0xb461, v56
	v_mul_f16_e32 v80, 0xb8d2, v91
	v_mul_f16_e64 v158, 0x3722, v60
	v_add_f16_e32 v61, v62, v61
	v_sub_f16_e32 v62, v100, v75
	v_add_f16_e32 v64, v66, v64
	v_add_f16_e32 v66, v114, v85
	;; [unrolled: 1-line block ×3, first 2 shown]
	v_sub_f16_e64 v59, v135, v109
	v_mul_f16_e64 v190, 0xb8d2, v57
	v_mul_f16_e64 v185, 0xbacd, v94
	v_mul_f16_e32 v116, 0x3b76, v63
	v_add_f16_e32 v61, v62, v61
	v_sub_f16_e64 v62, v158, v78
	v_add_f16_e32 v64, v66, v64
	v_add_f16_e32 v66, v122, v80
	;; [unrolled: 1-line block ×3, first 2 shown]
	v_sub_f16_e64 v59, v184, v112
	v_mul_f16_e32 v117, 0xbacd, v60
	v_add_f16_e32 v61, v62, v61
	v_sub_f16_e32 v62, v116, v84
	v_add_f16_e32 v64, v66, v64
	v_add_f16_e64 v66, v127, v185
	v_add_f16_e32 v58, v59, v58
	v_sub_f16_e64 v59, v190, v119
	v_fma_f16 v69, v70, 0xbbdd, -v173
	v_mul_f16_e32 v67, 0xbbdd, v63
	v_add_f16_e32 v61, v62, v61
	v_add_f16_e32 v62, v66, v64
	;; [unrolled: 1-line block ×3, first 2 shown]
	v_sub_f16_e32 v59, v117, v124
	v_add_f16_e32 v64, v69, v71
	v_fma_f16 v66, v72, 0x3b76, -v177
	v_fmac_f16_e64 v172, 0xbbdd, v52
	v_fmac_f16_e64 v171, 0x3b76, v53
	v_add_f16_e32 v58, v59, v58
	v_sub_f16_e64 v59, v67, v128
	v_add_f16_e32 v64, v66, v64
	v_fma_f16 v66, v79, 0xbacd, -v174
	v_add_f16_e64 v67, v172, v0
	v_add_f16_e32 v51, v51, v71
	v_add_f16_e32 v1, v1, v0
	;; [unrolled: 1-line block ×4, first 2 shown]
	v_fma_f16 v64, v82, 0x39e9, -v175
	v_add_f16_e64 v66, v171, v67
	v_fmac_f16_e64 v144, 0xbacd, v54
	v_add_f16_e32 v50, v50, v51
	v_add_f16_e32 v1, v21, v1
	v_add_f16_e32 v59, v64, v59
	v_fma_f16 v64, v87, 0xb8d2, -v151
	v_add_f16_e64 v66, v144, v66
	v_fmac_f16_e64 v145, 0x39e9, v55
	v_add_f16_e32 v49, v49, v50
	v_add_f16_e32 v1, v22, v1
	v_add_f16_e32 v21, v64, v59
	;; [unrolled: 6-line block ×4, first 2 shown]
	v_fma_f16 v20, v102, 0x2de8, -v167
	v_add_f16_e64 v21, v159, v22
	v_add_f16_e32 v22, v46, v47
	v_add_f16_e32 v1, v17, v1
	v_fmac_f16_e64 v166, 0xbacd, v52
	v_add_f16_e32 v17, v20, v19
	v_fma_f16 v19, v70, 0xbacd, -v152
	v_add_f16_e32 v20, v45, v22
	v_add_f16_e32 v1, v18, v1
	v_add_f16_e64 v0, v166, v0
	v_fmac_f16_e32 v103, 0x3722, v53
	v_add_f16_e32 v19, v19, v71
	v_add_f16_e32 v20, v44, v20
	;; [unrolled: 1-line block ×3, first 2 shown]
	v_fma_f16 v4, v72, 0x3722, -v153
	v_add_f16_e32 v0, v103, v0
	v_fmac_f16_e64 v176, 0x2de8, v54
	v_add_f16_e32 v20, v43, v20
	v_add_f16_e32 v1, v5, v1
	;; [unrolled: 1-line block ×3, first 2 shown]
	v_fma_f16 v5, v79, 0x2de8, -v154
	v_add_f16_e64 v0, v176, v0
	v_add_f16_e32 v19, v42, v20
	v_add_f16_e32 v1, v2, v1
	v_fmac_f16_e64 v180, 0xb8d2, v55
	v_add_f16_e32 v2, v5, v4
	v_fma_f16 v4, v82, 0xb8d2, -v156
	v_add_f16_e32 v5, v41, v19
	v_add_f16_e32 v1, v3, v1
	v_add_f16_e64 v0, v180, v0
	v_fmac_f16_e32 v120, 0x3b76, v56
	v_add_f16_e32 v2, v4, v2
	v_add_f16_e32 v3, v40, v5
	;; [unrolled: 1-line block ×3, first 2 shown]
	v_fma_f16 v4, v87, 0x3b76, -v155
	v_mul_f16_e64 v189, 0xbbdd, v102
	v_mul_f16_e64 v188, 0x3b76, v102
	v_add_f16_e32 v3, v30, v3
	v_add_f16_e32 v1, v7, v1
	;; [unrolled: 1-line block ×3, first 2 shown]
	v_fma_f16 v4, v91, 0xbbdd, -v157
	v_add_f16_e32 v0, v120, v0
	v_add_f16_e32 v3, v26, v3
	;; [unrolled: 1-line block ×3, first 2 shown]
	v_fmac_f16_e32 v126, 0xbbdd, v57
	v_add_f16_e64 v77, v141, v188
	v_add_f16_e64 v69, v131, v189
	v_add_f16_e32 v3, v25, v3
	v_add_f16_e32 v1, v16, v1
	v_fmac_f16_e64 v162, 0xb461, v60
	v_add_f16_e32 v2, v4, v2
	v_fma_f16 v4, v94, 0x39e9, -v161
	v_add_f16_e32 v3, v24, v3
	v_add_f16_e32 v1, v23, v1
	;; [unrolled: 1-line block ×3, first 2 shown]
	v_fmac_f16_e64 v132, 0x39e9, v60
	v_and_b32_e32 v5, 0xffff, v32
	v_lshlrev_b32_e32 v3, 16, v3
	v_and_b32_e32 v1, 0xffff, v1
	v_add_f16_e32 v68, v77, v68
	v_add_f16_e32 v62, v69, v62
	v_add_f16_e64 v18, v162, v21
	v_fmac_f16_e64 v164, 0x2de8, v63
	v_add_f16_e32 v2, v4, v2
	v_fma_f16 v4, v102, 0xb461, -v113
	v_add_f16_e64 v0, v132, v0
	v_fmac_f16_e64 v137, 0xb461, v63
	v_add_f16_e32 v73, v106, v73
	v_or_b32_e32 v1, v3, v1
	v_add_lshl_u32 v3, v13, v5, 2
	v_add_f16_e64 v18, v164, v18
	v_add_f16_e32 v2, v4, v2
	v_pack_b32_f16 v4, v61, v68
	v_pack_b32_f16 v5, v58, v62
	v_add_f16_e64 v0, v137, v0
	v_pack_b32_f16 v6, v73, v76
	v_pack_b32_f16 v7, v65, v83
	;; [unrolled: 1-line block ×4, first 2 shown]
	ds_store_b32 v3, v1
	ds_store_2addr_b32 v3, v5, v4 offset0:1 offset1:2
	ds_store_2addr_b32 v3, v7, v6 offset0:3 offset1:4
	;; [unrolled: 1-line block ×3, first 2 shown]
	v_pack_b32_f16 v1, v98, v143
	v_pack_b32_f16 v4, v148, v108
	;; [unrolled: 1-line block ×4, first 2 shown]
	v_perm_b32 v5, v38, v11, 0x5040100
	v_perm_b32 v6, v39, v14, 0x5040100
	;; [unrolled: 1-line block ×6, first 2 shown]
	ds_store_2addr_b32 v3, v4, v1 offset0:7 offset1:8
	ds_store_2addr_b32 v3, v2, v0 offset0:9 offset1:10
	ds_store_2addr_b32 v3, v6, v5 offset0:11 offset1:12
	ds_store_2addr_b32 v3, v15, v7 offset0:13 offset1:14
	ds_store_2addr_b32 v3, v17, v16 offset0:15 offset1:16
.LBB0_7:
	s_wait_alu 0xfffe
	s_or_b32 exec_lo, exec_lo, s4
	v_mul_u32_u24_e32 v0, 10, v29
	s_load_b128 s[4:7], s[2:3], 0x0
	global_wb scope:SCOPE_SE
	s_wait_dscnt 0x0
	s_wait_kmcnt 0x0
	s_barrier_signal -1
	s_barrier_wait -1
	v_lshlrev_b32_e32 v15, 2, v0
	global_inv scope:SCOPE_SE
	v_add_lshl_u32 v40, v13, v29, 2
	v_lshl_add_u32 v30, v29, 2, v31
	s_clause 0x2
	global_load_b128 v[4:7], v15, s[0:1]
	global_load_b128 v[0:3], v15, s[0:1] offset:16
	global_load_b64 v[15:16], v15, s[0:1] offset:32
	ds_load_2addr_b32 v[17:18], v40 offset1:17
	ds_load_2addr_b32 v[19:20], v40 offset0:34 offset1:51
	ds_load_2addr_b32 v[21:22], v40 offset0:68 offset1:85
	ds_load_2addr_b32 v[23:24], v40 offset0:102 offset1:119
	ds_load_2addr_b32 v[25:26], v40 offset0:136 offset1:153
	ds_load_b32 v13, v40 offset:680
	s_wait_dscnt 0x5
	v_lshrrev_b32_e32 v51, 16, v18
	s_wait_dscnt 0x4
	v_lshrrev_b32_e32 v52, 16, v19
	v_lshrrev_b32_e32 v53, 16, v20
	s_wait_dscnt 0x3
	v_lshrrev_b32_e32 v54, 16, v21
	s_wait_dscnt 0x1
	;; [unrolled: 2-line block ×3, first 2 shown]
	v_lshrrev_b32_e32 v60, 16, v13
	v_lshrrev_b32_e32 v55, 16, v22
	;; [unrolled: 1-line block ×6, first 2 shown]
	s_wait_loadcnt 0x2
	v_lshrrev_b32_e32 v50, 16, v4
	v_lshrrev_b32_e32 v49, 16, v5
	s_wait_loadcnt 0x0
	v_lshrrev_b32_e32 v42, 16, v15
	v_lshrrev_b32_e32 v41, 16, v16
	;; [unrolled: 1-line block ×3, first 2 shown]
	v_mul_f16_e32 v62, v51, v50
	v_mul_f16_e32 v63, v18, v50
	v_lshrrev_b32_e32 v47, 16, v7
	v_lshrrev_b32_e32 v46, 16, v0
	;; [unrolled: 1-line block ×5, first 2 shown]
	v_mul_f16_e32 v64, v52, v49
	v_mul_f16_e32 v65, v19, v49
	;; [unrolled: 1-line block ×5, first 2 shown]
	v_fma_f16 v18, v18, v4, -v62
	v_fmac_f16_e32 v63, v51, v4
	v_mul_f16_e32 v66, v53, v48
	v_mul_f16_e32 v67, v20, v48
	;; [unrolled: 1-line block ×13, first 2 shown]
	v_fma_f16 v19, v19, v5, -v64
	v_fmac_f16_e32 v65, v52, v5
	v_fma_f16 v62, v26, v15, -v78
	v_fma_f16 v64, v13, v16, -v80
	v_fmac_f16_e32 v81, v60, v16
	v_add_f16_e32 v13, v18, v17
	v_add_f16_e32 v26, v63, v61
	v_fma_f16 v20, v20, v6, -v66
	v_fmac_f16_e32 v67, v53, v6
	v_fma_f16 v21, v21, v7, -v68
	v_fmac_f16_e32 v69, v54, v7
	;; [unrolled: 2-line block ×6, first 2 shown]
	v_fmac_f16_e32 v79, v59, v15
	v_add_f16_e32 v51, v18, v64
	v_sub_f16_e32 v18, v18, v64
	v_sub_f16_e32 v53, v63, v81
	v_add_f16_e32 v54, v19, v62
	v_sub_f16_e32 v56, v19, v62
	v_add_f16_e32 v13, v13, v19
	v_add_f16_e32 v19, v26, v65
	;; [unrolled: 1-line block ×4, first 2 shown]
	v_sub_f16_e32 v57, v65, v79
	v_sub_f16_e32 v60, v20, v25
	;; [unrolled: 1-line block ×7, first 2 shown]
	v_mul_f16_e32 v26, 0xb853, v53
	v_mul_f16_e32 v65, 0xb853, v18
	;; [unrolled: 1-line block ×10, first 2 shown]
	v_add_f16_e32 v13, v13, v20
	v_add_f16_e32 v19, v19, v67
	;; [unrolled: 1-line block ×8, first 2 shown]
	v_mul_f16_e32 v88, 0xbb47, v57
	v_mul_f16_e32 v89, 0xbb47, v56
	v_mul_f16_e32 v90, 0xba0c, v57
	v_mul_f16_e32 v91, 0xba0c, v56
	v_mul_f16_e32 v92, 0x3482, v57
	v_mul_f16_e32 v93, 0x3482, v56
	v_mul_f16_e32 v94, 0x3beb, v57
	v_mul_f16_e32 v95, 0x3beb, v56
	v_mul_f16_e32 v57, 0x3853, v57
	v_mul_f16_e32 v56, 0x3853, v56
	v_mul_f16_e32 v96, 0xbbeb, v63
	v_mul_f16_e32 v97, 0xbbeb, v60
	v_mul_f16_e32 v98, 0x3482, v63
	v_mul_f16_e32 v99, 0x3482, v60
	v_mul_f16_e32 v100, 0x3b47, v63
	v_mul_f16_e32 v101, 0x3b47, v60
	v_mul_f16_e32 v102, 0xb853, v63
	v_mul_f16_e32 v103, 0xb853, v60
	v_mul_f16_e32 v63, 0xba0c, v63
	v_mul_f16_e32 v60, 0xba0c, v60
	v_mul_f16_e32 v104, 0xba0c, v72
	v_mul_f16_e32 v105, 0xba0c, v70
	v_mul_f16_e32 v106, 0x3beb, v72
	v_mul_f16_e32 v107, 0x3beb, v70
	v_mul_f16_e32 v108, 0xb853, v72
	v_mul_f16_e32 v109, 0xb853, v70
	v_mul_f16_e32 v110, 0xb482, v72
	v_mul_f16_e32 v111, 0xb482, v70
	v_mul_f16_e32 v72, 0x3b47, v72
	v_mul_f16_e32 v70, 0x3b47, v70
	v_mul_f16_e32 v112, 0xb482, v80
	v_mul_f16_e32 v113, 0xb482, v78
	v_mul_f16_e32 v114, 0x3853, v80
	v_mul_f16_e32 v115, 0x3853, v78
	v_mul_f16_e32 v116, 0xba0c, v80
	v_mul_f16_e32 v117, 0xba0c, v78
	v_mul_f16_e32 v118, 0x3b47, v80
	v_mul_f16_e32 v119, 0x3b47, v78
	v_mul_f16_e32 v80, 0xbbeb, v80
	v_mul_f16_e32 v78, 0xbbeb, v78
	v_fma_f16 v20, v51, 0x3abb, -v26
	v_fmamk_f16 v67, v52, 0x3abb, v65
	v_fmac_f16_e32 v26, 0x3abb, v51
	v_fma_f16 v65, v52, 0x3abb, -v65
	v_fma_f16 v120, v51, 0x36a6, -v82
	v_fmamk_f16 v121, v52, 0x36a6, v83
	v_fmac_f16_e32 v82, 0x36a6, v51
	v_fma_f16 v83, v52, 0x36a6, -v83
	;; [unrolled: 4-line block ×4, first 2 shown]
	v_fma_f16 v126, v51, 0xbbad, -v53
	v_fmamk_f16 v127, v52, 0xbbad, v18
	v_fmac_f16_e32 v53, 0xbbad, v51
	v_add_f16_e32 v13, v13, v21
	v_add_f16_e32 v19, v19, v69
	v_fma_f16 v18, v52, 0xbbad, -v18
	v_fma_f16 v51, v54, 0x36a6, -v88
	v_fmamk_f16 v52, v55, 0x36a6, v89
	v_fmac_f16_e32 v88, 0x36a6, v54
	v_fma_f16 v89, v55, 0x36a6, -v89
	v_fma_f16 v128, v54, 0xb93d, -v90
	v_fma_f16 v129, 0xb93d, v55, v91
	v_fmac_f16_e32 v90, 0xb93d, v54
	v_fma_f16 v91, v55, 0xb93d, -v91
	v_fma_f16 v130, v54, 0xbbad, -v92
	v_fma_f16 v131, 0xbbad, v55, v93
	v_fmac_f16_e32 v92, 0xbbad, v54
	v_fma_f16 v93, v55, 0xbbad, -v93
	v_fma_f16 v132, v54, 0xb08e, -v94
	v_fma_f16 v133, 0xb08e, v55, v95
	v_fmac_f16_e32 v94, 0xb08e, v54
	v_fma_f16 v95, v55, 0xb08e, -v95
	v_fma_f16 v134, v54, 0x3abb, -v57
	v_fma_f16 v135, 0x3abb, v55, v56
	v_fmac_f16_e32 v57, 0x3abb, v54
	v_fma_f16 v54, v55, 0x3abb, -v56
	v_fma_f16 v55, v58, 0xb08e, -v96
	v_fmamk_f16 v56, v59, 0xb08e, v97
	v_fmac_f16_e32 v96, 0xb08e, v58
	v_fma_f16 v97, v59, 0xb08e, -v97
	v_fma_f16 v136, v58, 0xbbad, -v98
	v_fma_f16 v137, 0xbbad, v59, v99
	v_fmac_f16_e32 v98, 0xbbad, v58
	v_fma_f16 v99, v59, 0xbbad, -v99
	v_fma_f16 v138, v58, 0x36a6, -v100
	v_fma_f16 v139, 0x36a6, v59, v101
	v_fmac_f16_e32 v100, 0x36a6, v58
	v_fma_f16 v101, v59, 0x36a6, -v101
	v_fma_f16 v140, v58, 0x3abb, -v102
	v_fma_f16 v141, 0x3abb, v59, v103
	v_fmac_f16_e32 v102, 0x3abb, v58
	v_fma_f16 v103, v59, 0x3abb, -v103
	v_fma_f16 v142, v58, 0xb93d, -v63
	v_fma_f16 v143, 0xb93d, v59, v60
	v_fmac_f16_e32 v63, 0xb93d, v58
	v_fma_f16 v58, v59, 0xb93d, -v60
	v_fma_f16 v59, v66, 0xb93d, -v104
	v_fmamk_f16 v60, v68, 0xb93d, v105
	v_fmac_f16_e32 v104, 0xb93d, v66
	v_fma_f16 v105, v68, 0xb93d, -v105
	v_fma_f16 v144, v66, 0xb08e, -v106
	v_fma_f16 v145, 0xb08e, v68, v107
	v_fmac_f16_e32 v106, 0xb08e, v66
	v_fma_f16 v107, v68, 0xb08e, -v107
	v_fma_f16 v146, v66, 0x3abb, -v108
	v_fma_f16 v147, 0x3abb, v68, v109
	v_fmac_f16_e32 v108, 0x3abb, v66
	v_fma_f16 v109, v68, 0x3abb, -v109
	v_fma_f16 v148, v66, 0xbbad, -v110
	v_fma_f16 v149, 0xbbad, v68, v111
	v_fmac_f16_e32 v110, 0xbbad, v66
	v_fma_f16 v111, v68, 0xbbad, -v111
	v_fma_f16 v150, v66, 0x36a6, -v72
	v_fma_f16 v151, 0x36a6, v68, v70
	v_fmac_f16_e32 v72, 0x36a6, v66
	v_fma_f16 v66, v68, 0x36a6, -v70
	v_fma_f16 v68, v74, 0xbbad, -v112
	v_fmamk_f16 v70, v76, 0xbbad, v113
	v_fmac_f16_e32 v112, 0xbbad, v74
	v_fma_f16 v113, v76, 0xbbad, -v113
	v_fma_f16 v152, v74, 0x3abb, -v114
	v_fma_f16 v153, 0x3abb, v76, v115
	v_fmac_f16_e32 v114, 0x3abb, v74
	v_fma_f16 v115, v76, 0x3abb, -v115
	v_fma_f16 v154, v74, 0xb93d, -v116
	v_fma_f16 v155, 0xb93d, v76, v117
	v_fmac_f16_e32 v116, 0xb93d, v74
	v_fma_f16 v117, v76, 0xb93d, -v117
	v_fma_f16 v156, v74, 0x36a6, -v118
	v_fma_f16 v157, 0x36a6, v76, v119
	v_fmac_f16_e32 v118, 0x36a6, v74
	v_fma_f16 v119, v76, 0x36a6, -v119
	v_fma_f16 v158, v74, 0xb08e, -v80
	v_fma_f16 v159, 0xb08e, v76, v78
	v_fmac_f16_e32 v80, 0xb08e, v74
	v_fma_f16 v74, v76, 0xb08e, -v78
	v_add_f16_e32 v20, v20, v17
	v_add_f16_e32 v21, v67, v61
	;; [unrolled: 1-line block ×26, first 2 shown]
	v_add_f16_e64 v51, v128, v67
	v_add_f16_e64 v52, v129, v69
	v_add_f16_e32 v53, v90, v76
	v_add_f16_e32 v61, v91, v78
	v_add_f16_e64 v65, v130, v82
	v_add_f16_e64 v67, v131, v83
	v_add_f16_e32 v69, v92, v84
	v_add_f16_e32 v71, v93, v85
	;; [unrolled: 4-line block ×4, first 2 shown]
	v_add_f16_e32 v19, v19, v73
	v_add_f16_e32 v18, v54, v18
	;; [unrolled: 1-line block ×5, first 2 shown]
	v_add_f16_e64 v26, v136, v51
	v_add_f16_e64 v51, v137, v52
	v_add_f16_e32 v52, v98, v53
	v_add_f16_e32 v53, v99, v61
	v_add_f16_e64 v54, v138, v65
	v_add_f16_e64 v55, v139, v67
	v_add_f16_e32 v56, v100, v69
	v_add_f16_e32 v57, v101, v71
	;; [unrolled: 4-line block ×4, first 2 shown]
	v_add_f16_e32 v19, v19, v75
	v_add_f16_e32 v23, v105, v23
	v_add_f16_e64 v61, v148, v61
	v_add_f16_e64 v63, v149, v65
	v_add_f16_e32 v65, v110, v67
	v_add_f16_e32 v67, v111, v69
	v_add_f16_e64 v69, v150, v71
	v_add_f16_e64 v71, v151, v73
	v_add_f16_e32 v17, v72, v17
	v_add_f16_e32 v72, v13, v25
	;; [unrolled: 1-line block ×4, first 2 shown]
	v_add_f16_e64 v24, v144, v26
	v_add_f16_e64 v26, v145, v51
	v_add_f16_e32 v51, v113, v23
	v_add_f16_e64 v25, v156, v61
	v_add_f16_e32 v23, v80, v17
	v_add_f16_e32 v17, v72, v62
	;; [unrolled: 1-line block ×9, first 2 shown]
	v_add_f16_e64 v54, v146, v54
	v_add_f16_e64 v55, v147, v55
	v_add_f16_e32 v56, v108, v56
	v_add_f16_e32 v57, v109, v57
	;; [unrolled: 1-line block ×8, first 2 shown]
	v_add_f16_e64 v21, v152, v24
	v_add_f16_e64 v59, v153, v26
	v_add_f16_e32 v20, v114, v52
	v_add_f16_e32 v52, v115, v53
	v_add_f16_e64 v22, v154, v54
	v_add_f16_e64 v58, v155, v55
	v_add_f16_e32 v19, v116, v56
	v_add_f16_e32 v53, v117, v57
	v_add_f16_e64 v57, v157, v63
	v_add_f16_e64 v26, v158, v69
	;; [unrolled: 1-line block ×3, first 2 shown]
	v_lshlrev_b32_e32 v61, 16, v61
	v_and_b32_e32 v17, 0xffff, v17
	v_add_f16_e32 v24, v118, v65
	v_add_f16_e32 v54, v119, v67
	;; [unrolled: 1-line block ×3, first 2 shown]
	v_pack_b32_f16 v63, v21, v59
	v_pack_b32_f16 v65, v22, v58
	;; [unrolled: 1-line block ×4, first 2 shown]
	v_or_b32_e32 v17, v61, v17
	v_pack_b32_f16 v67, v23, v55
	v_pack_b32_f16 v68, v24, v54
	;; [unrolled: 1-line block ×6, first 2 shown]
	ds_store_2addr_b32 v30, v63, v65 offset0:34 offset1:51
	ds_store_2addr_b32 v30, v66, v64 offset0:68 offset1:85
	;; [unrolled: 1-line block ×4, first 2 shown]
	ds_store_b32 v30, v71 offset:680
	ds_store_2addr_b32 v30, v17, v62 offset1:17
	global_wb scope:SCOPE_SE
	s_wait_dscnt 0x0
	s_barrier_signal -1
	s_barrier_wait -1
	global_inv scope:SCOPE_SE
	s_and_saveexec_b32 s2, vcc_lo
	s_cbranch_execz .LBB0_9
; %bb.8:
	s_add_nc_u64 s[0:1], s[12:13], 0x2ec
	s_clause 0x10
	global_load_b32 v77, v28, s[12:13] offset:748
	global_load_b32 v78, v28, s[0:1] offset:44
	;; [unrolled: 1-line block ×17, first 2 shown]
	ds_load_2addr_b32 v[61:62], v30 offset1:11
	ds_load_2addr_b32 v[63:64], v30 offset0:22 offset1:33
	ds_load_2addr_b32 v[65:66], v30 offset0:44 offset1:55
	;; [unrolled: 1-line block ×7, first 2 shown]
	ds_load_b32 v94, v30 offset:704
	s_wait_dscnt 0x8
	v_lshrrev_b32_e32 v95, 16, v61
	v_lshrrev_b32_e32 v96, 16, v62
	s_wait_dscnt 0x7
	v_lshrrev_b32_e32 v97, 16, v63
	v_lshrrev_b32_e32 v98, 16, v64
	;; [unrolled: 3-line block ×8, first 2 shown]
	s_wait_dscnt 0x0
	v_lshrrev_b32_e32 v111, 16, v94
	s_wait_loadcnt 0x10
	v_lshrrev_b32_e32 v112, 16, v77
	s_wait_loadcnt 0xf
	v_lshrrev_b32_e32 v113, 16, v78
	s_wait_loadcnt 0xe
	v_lshrrev_b32_e32 v114, 16, v79
	s_wait_loadcnt 0xd
	v_lshrrev_b32_e32 v115, 16, v80
	s_wait_loadcnt 0xc
	v_lshrrev_b32_e32 v116, 16, v81
	s_wait_loadcnt 0xb
	v_lshrrev_b32_e32 v117, 16, v82
	s_wait_loadcnt 0xa
	v_lshrrev_b32_e32 v118, 16, v83
	s_wait_loadcnt 0x9
	v_lshrrev_b32_e32 v119, 16, v84
	s_wait_loadcnt 0x8
	v_lshrrev_b32_e32 v120, 16, v85
	s_wait_loadcnt 0x7
	v_lshrrev_b32_e32 v121, 16, v86
	s_wait_loadcnt 0x6
	v_lshrrev_b32_e32 v122, 16, v87
	s_wait_loadcnt 0x5
	v_lshrrev_b32_e32 v123, 16, v88
	s_wait_loadcnt 0x4
	v_lshrrev_b32_e32 v124, 16, v89
	s_wait_loadcnt 0x3
	v_lshrrev_b32_e32 v125, 16, v90
	s_wait_loadcnt 0x2
	v_lshrrev_b32_e32 v126, 16, v91
	s_wait_loadcnt 0x1
	v_lshrrev_b32_e32 v127, 16, v92
	s_wait_loadcnt 0x0
	v_lshrrev_b32_e32 v128, 16, v93
	v_mul_f16_e64 v129, v95, v112
	v_mul_f16_e32 v112, v61, v112
	v_mul_f16_e64 v130, v96, v113
	v_mul_f16_e32 v113, v62, v113
	;; [unrolled: 2-line block ×16, first 2 shown]
	v_mul_f16_e64 v145, v111, v128
	v_mul_f16_e64 v128, v94, v128
	v_fma_f16 v61, v61, v77, -v129
	v_fmac_f16_e32 v112, v95, v77
	v_fma_f16 v62, v62, v78, -v130
	v_fmac_f16_e32 v113, v96, v78
	;; [unrolled: 2-line block ×16, first 2 shown]
	v_fma_f16 v77, v94, v93, -v145
	v_fmac_f16_e64 v128, v111, v93
	v_pack_b32_f16 v61, v61, v112
	v_pack_b32_f16 v62, v62, v113
	;; [unrolled: 1-line block ×17, first 2 shown]
	ds_store_2addr_b32 v30, v61, v62 offset1:11
	ds_store_2addr_b32 v30, v63, v64 offset0:22 offset1:33
	ds_store_2addr_b32 v30, v65, v66 offset0:44 offset1:55
	ds_store_2addr_b32 v30, v67, v68 offset0:66 offset1:77
	ds_store_2addr_b32 v30, v69, v70 offset0:88 offset1:99
	ds_store_2addr_b32 v30, v71, v72 offset0:110 offset1:121
	ds_store_2addr_b32 v30, v73, v74 offset0:132 offset1:143
	ds_store_2addr_b32 v30, v75, v76 offset0:154 offset1:165
	ds_store_b32 v30, v77 offset:704
.LBB0_9:
	s_wait_alu 0xfffe
	s_or_b32 exec_lo, exec_lo, s2
	global_wb scope:SCOPE_SE
	s_wait_dscnt 0x0
	s_barrier_signal -1
	s_barrier_wait -1
	global_inv scope:SCOPE_SE
	s_and_saveexec_b32 s0, vcc_lo
	s_cbranch_execz .LBB0_11
; %bb.10:
	ds_load_2addr_b32 v[17:18], v30 offset1:11
	ds_load_2addr_b32 v[21:22], v30 offset0:22 offset1:33
	ds_load_2addr_b32 v[25:26], v30 offset0:44 offset1:55
	;; [unrolled: 1-line block ×7, first 2 shown]
	ds_load_b32 v33, v30 offset:704
	s_wait_dscnt 0x8
	v_lshrrev_b32_e32 v60, 16, v18
	s_wait_dscnt 0x7
	v_lshrrev_b32_e32 v59, 16, v21
	v_lshrrev_b32_e32 v58, 16, v22
	s_wait_dscnt 0x6
	v_lshrrev_b32_e32 v57, 16, v25
	;; [unrolled: 3-line block ×8, first 2 shown]
.LBB0_11:
	s_wait_alu 0xfffe
	s_or_b32 exec_lo, exec_lo, s0
	global_wb scope:SCOPE_SE
	s_barrier_signal -1
	s_barrier_wait -1
	global_inv scope:SCOPE_SE
	s_and_saveexec_b32 s0, vcc_lo
	s_cbranch_execz .LBB0_13
; %bb.12:
	v_add_f16_e32 v112, v34, v60
	v_sub_f16_e32 v66, v18, v33
	v_add_f16_e32 v127, v35, v59
	v_lshrrev_b32_e32 v61, 16, v17
	v_sub_f16_e32 v62, v21, v10
	v_mul_f16_e32 v96, 0xbbdd, v112
	v_add_f16_e32 v117, v36, v58
	v_mul_f16_e32 v91, 0x3b76, v127
	v_sub_f16_e32 v63, v22, v9
	v_add_f16_e32 v114, v37, v57
	v_fmamk_f16 v65, v66, 0x31e1, v96
	v_mul_f16_e32 v89, 0xbacd, v117
	v_fmamk_f16 v67, v62, 0xb5c8, v91
	v_sub_f16_e32 v64, v25, v12
	v_add_f16_e32 v115, v38, v56
	v_add_f16_e32 v68, v65, v61
	v_mul_f16_e32 v90, 0x39e9, v114
	v_fmamk_f16 v69, v63, 0x3836, v89
	v_sub_f16_e64 v170, v60, v34
	v_sub_f16_e32 v65, v26, v11
	v_add_f16_e32 v68, v67, v68
	v_mul_f16_e32 v92, 0xb8d2, v115
	v_fmamk_f16 v70, v64, 0xb964, v90
	v_sub_f16_e64 v175, v59, v35
	v_mul_f16_e64 v103, 0xb1e1, v170
	v_add_f16_e32 v68, v69, v68
	v_add_f16_e32 v69, v33, v18
	;; [unrolled: 1-line block ×3, first 2 shown]
	v_fmamk_f16 v71, v65, 0x3a62, v92
	v_mul_f16_e64 v102, 0x35c8, v175
	v_add_f16_e32 v68, v70, v68
	v_add_f16_e32 v70, v10, v21
	v_fmamk_f16 v72, v69, 0xbbdd, v103
	v_sub_f16_e64 v179, v58, v36
	v_sub_f16_e32 v67, v23, v14
	v_mul_f16_e32 v93, 0x3722, v116
	v_add_f16_e32 v73, v71, v68
	v_add_f16_e64 v143, v51, v54
	v_add_f16_e32 v72, v72, v17
	v_fmamk_f16 v75, v70, 0x3b76, v102
	v_add_f16_e32 v71, v9, v22
	v_mul_f16_e64 v98, 0xb836, v179
	v_sub_f16_e64 v183, v57, v37
	v_fmamk_f16 v74, v67, 0xbb29, v93
	v_mul_f16_e64 v95, 0xb461, v143
	v_sub_f16_e32 v68, v24, v13
	v_add_f16_e32 v75, v75, v72
	v_fmamk_f16 v76, v71, 0xbacd, v98
	v_add_f16_e32 v72, v12, v25
	v_mul_f16_e64 v99, 0x3964, v183
	v_sub_f16_e64 v184, v56, v38
	v_add_f16_e32 v73, v74, v73
	v_fmamk_f16 v77, v68, 0x3bb2, v95
	v_add_f16_e32 v75, v76, v75
	v_fmamk_f16 v76, v72, 0x39e9, v99
	v_add_f16_e32 v74, v11, v26
	v_mul_f16_e64 v101, 0xba62, v184
	v_sub_f16_e64 v186, v55, v39
	v_add_f16_e64 v185, v52, v53
	v_add_f16_e32 v73, v77, v73
	v_add_f16_e32 v77, v76, v75
	v_fmamk_f16 v78, v74, 0xb8d2, v101
	v_add_f16_e32 v75, v14, v23
	v_mul_f16_e64 v104, 0x3b29, v186
	v_mul_f16_e64 v97, 0x2de8, v185
	v_sub_f16_e64 v188, v54, v51
	v_sub_f16_e32 v76, v19, v20
	v_add_f16_e32 v78, v78, v77
	v_fmamk_f16 v79, v75, 0x3722, v104
	v_add_f16_e32 v77, v13, v24
	v_mul_f16_e64 v109, 0xbbb2, v188
	v_fmamk_f16 v80, v76, 0xbbf7, v97
	v_sub_f16_e64 v148, v53, v52
	v_mul_f16_e32 v123, 0xbacd, v112
	v_add_f16_e32 v79, v79, v78
	v_fmamk_f16 v81, v77, 0xb461, v109
	v_add_f16_e32 v78, v20, v19
	v_mul_f16_e64 v107, 0x3bf7, v148
	v_add_f16_e32 v73, v80, v73
	v_fmamk_f16 v80, v66, 0x3836, v123
	v_mul_f16_e32 v124, 0x3722, v127
	v_add_f16_e32 v79, v81, v79
	v_fmamk_f16 v81, v78, 0x2de8, v107
	v_mul_f16_e64 v118, 0xb836, v170
	v_add_f16_e32 v80, v80, v61
	v_fmamk_f16 v82, v62, 0xbb29, v124
	v_mul_f16_e64 v145, 0x2de8, v117
	;; [unrolled: 3-line block ×3, first 2 shown]
	v_add_f16_e32 v80, v82, v80
	v_fma_f16 v82, 0x3bf7, v63, v145
	v_mul_f16_e64 v146, 0xb8d2, v114
	v_add_f16_e32 v81, v81, v17
	v_fmamk_f16 v83, v70, 0x3722, v119
	v_mul_f16_e64 v113, 0xbbf7, v179
	v_add_f16_e32 v80, v82, v80
	v_fma_f16 v82, 0xba62, v64, v146
	v_mul_f16_e64 v147, 0x3b76, v115
	v_add_f16_e32 v81, v83, v81
	v_fmamk_f16 v83, v71, 0x2de8, v113
	v_mul_f16_e64 v105, 0x3a62, v183
	;; [unrolled: 6-line block ×4, first 2 shown]
	v_add_f16_e32 v80, v82, v80
	v_fmamk_f16 v82, v68, 0xb964, v122
	v_mul_f16_e64 v100, 0xb461, v185
	v_add_f16_e32 v81, v83, v81
	v_fmamk_f16 v83, v75, 0xbbdd, v108
	v_mul_f16_e64 v110, 0x3964, v188
	;; [unrolled: 3-line block ×4, first 2 shown]
	v_add_f16_e32 v80, v82, v80
	v_fma_f16 v82, 0x3a62, v66, v132
	v_mul_f16_e32 v121, 0xb461, v127
	v_add_f16_e32 v81, v83, v81
	v_fmamk_f16 v83, v78, 0xb461, v111
	v_mul_f16_e64 v151, 0xba62, v170
	v_add_f16_e32 v82, v82, v61
	v_fmamk_f16 v84, v62, 0xbbb2, v121
	v_mul_f16_e64 v134, 0x3b76, v117
	v_add_f16_e32 v81, v83, v81
	v_fma_f16 v83, 0xb8d2, v69, v151
	v_mul_f16_e64 v155, 0x3bb2, v175
	v_add_f16_e32 v82, v84, v82
	v_fma_f16 v84, 0x35c8, v63, v134
	v_mul_f16_e64 v139, 0xbacd, v114
	v_add_f16_e32 v83, v83, v17
	v_fma_f16 v85, 0xb461, v70, v155
	v_mul_f16_e64 v158, 0xb5c8, v179
	v_add_f16_e32 v82, v84, v82
	v_fma_f16 v84, 0x3836, v64, v139
	v_mul_f16_e64 v140, 0x2de8, v115
	v_add_f16_e32 v83, v85, v83
	v_fma_f16 v85, 0x3b76, v71, v158
	v_mul_f16_e64 v166, 0xb836, v183
	v_add_f16_e32 v82, v84, v82
	v_fma_f16 v84, 0xbbf7, v65, v140
	v_mul_f16_e64 v142, 0x39e9, v116
	v_add_f16_e32 v83, v85, v83
	v_fma_f16 v85, 0xbacd, v72, v166
	v_mul_f16_e64 v167, 0x3bf7, v184
	v_add_f16_e32 v82, v84, v82
	v_fma_f16 v84, 0x3964, v67, v142
	v_mul_f16_e64 v131, 0xbbdd, v143
	v_add_f16_e32 v83, v85, v83
	v_fma_f16 v85, 0x2de8, v74, v167
	v_mul_f16_e64 v168, 0xb964, v186
	v_add_f16_e32 v82, v84, v82
	v_fma_f16 v84, 0x31e1, v68, v131
	v_mul_f16_e64 v120, 0x3722, v185
	v_add_f16_e32 v83, v85, v83
	v_fma_f16 v85, 0x39e9, v75, v168
	v_mul_f16_e64 v152, 0xb1e1, v188
	v_add_f16_e32 v82, v84, v82
	v_fmamk_f16 v84, v76, 0xbb29, v120
	v_mul_f16_e64 v174, 0xb461, v112
	v_add_f16_e32 v83, v85, v83
	v_fma_f16 v85, 0xbbdd, v77, v152
	v_mul_f16_e64 v126, 0x3b29, v148
	v_add_f16_e32 v82, v84, v82
	v_fma_f16 v84, 0x3bb2, v66, v174
	v_mul_f16_e64 v129, 0xbacd, v127
	v_add_f16_e32 v83, v85, v83
	v_fmamk_f16 v85, v78, 0x3722, v126
	v_mul_f16_e64 v180, 0xbbb2, v170
	v_add_f16_e32 v84, v84, v61
	v_fma_f16 v86, 0xb836, v62, v129
	v_mul_f16_e64 v135, 0x39e9, v117
	v_add_f16_e32 v83, v85, v83
	v_fma_f16 v85, 0xb461, v69, v180
	;; [unrolled: 3-line block ×12, first 2 shown]
	v_mul_f16_e64 v163, 0xb5c8, v188
	v_add_f16_e32 v84, v86, v84
	v_fmamk_f16 v86, v76, 0x3a62, v125
	v_mul_f16_e64 v196, 0x2de8, v112
	v_add_f16_e32 v85, v87, v85
	v_fma_f16 v87, 0x3b76, v77, v163
	v_mul_f16_e64 v149, 0xba62, v148
	v_add_f16_e32 v84, v86, v84
	v_fma_f16 v86, 0x3bf7, v66, v196
	;; [unrolled: 3-line block ×21, first 2 shown]
	v_mul_f16_e64 v212, 0xba62, v175
	v_add_f16_e64 v88, v154, v88
	v_fma_f16 v154, 0xb1e1, v63, v203
	v_mul_f16_e64 v204, 0xb461, v114
	v_add_f16_e32 v94, v94, v17
	v_fma_f16 v156, 0xb8d2, v70, v212
	v_mul_f16_e64 v213, 0x31e1, v179
	v_add_f16_e64 v88, v154, v88
	v_fma_f16 v154, 0xbbb2, v64, v204
	v_mul_f16_e64 v205, 0x39e9, v115
	v_add_f16_e64 v94, v156, v94
	;; [unrolled: 3-line block ×27, first 2 shown]
	v_fma_f16 v194, 0x35c8, v66, v177
	v_mul_f16_e32 v127, 0x39e9, v127
	v_add_f16_e64 v191, v222, v191
	v_fma_f16 v222, 0x3b76, v78, v178
	v_mul_f16_e64 v193, 0xb5c8, v170
	v_add_f16_e64 v194, v194, v61
	v_fma_f16 v223, 0x3964, v62, v127
	v_mul_f16_e64 v170, 0x3722, v117
	;; [unrolled: 3-line block ×5, first 2 shown]
	v_add_f16_e64 v223, v223, v194
	v_fma_f16 v224, 0x3bf7, v64, v175
	v_mul_f16_e32 v115, 0xb461, v115
	v_add_f16_e64 v114, v222, v114
	v_fma_f16 v222, 0x3722, v71, v179
	v_mul_f16_e64 v194, 0xbbf7, v183
	v_add_f16_e64 v223, v224, v223
	v_fma_f16 v224, 0x3bb2, v65, v115
	v_mul_f16_e32 v116, 0xb8d2, v116
	v_add_f16_e64 v114, v222, v114
	v_fma_f16 v222, 0x2de8, v72, v194
	v_mul_f16_e64 v183, 0xbbb2, v184
	v_add_f16_e64 v223, v224, v223
	v_fma_f16 v224, 0x3a62, v67, v116
	v_mul_f16_e64 v143, 0xbacd, v143
	;; [unrolled: 3-line block ×5, first 2 shown]
	v_fmac_f16_e32 v96, 0xb1e1, v66
	v_add_f16_e64 v186, v223, v186
	v_fma_f16 v188, 0x31e1, v76, v114
	v_add_f16_e64 v222, v224, v222
	v_fmac_f16_e32 v91, 0x35c8, v62
	v_add_f16_e64 v224, v96, v61
	v_fmac_f16_e32 v89, 0xb836, v63
	v_add_f16_e64 v96, v188, v186
	v_fma_f16 v186, v69, 0xbbdd, -v103
	v_mul_f16_e64 v103, 0xb1e1, v148
	v_add_f16_e64 v91, v91, v224
	v_fma_f16 v102, v70, 0x3b76, -v102
	v_fmac_f16_e32 v123, 0xb836, v66
	v_add_f16_e64 v148, v186, v17
	v_fmac_f16_e32 v90, 0x3964, v64
	v_add_f16_e32 v89, v89, v91
	v_fma_f16 v98, v71, 0xbacd, -v98
	v_fmac_f16_e32 v124, 0x3b29, v62
	v_add_f16_e64 v91, v102, v148
	v_add_f16_e32 v102, v123, v61
	v_add_f16_e32 v89, v90, v89
	v_fmac_f16_e32 v92, 0xba62, v65
	v_fmac_f16_e64 v145, 0xbbf7, v63
	v_add_f16_e32 v90, v98, v91
	v_fma_f16 v91, v72, 0x39e9, -v99
	v_add_f16_e32 v98, v124, v102
	v_add_f16_e32 v89, v92, v89
	v_fmac_f16_e32 v93, 0x3b29, v67
	v_fmac_f16_e64 v146, 0x3a62, v64
	v_add_f16_e32 v90, v91, v90
	v_fma_f16 v91, v74, 0xb8d2, -v101
	v_add_f16_e64 v92, v145, v98
	v_add_f16_e32 v89, v93, v89
	v_fmac_f16_e32 v95, 0xbbb2, v68
	v_fmac_f16_e64 v147, 0xb5c8, v65
	v_add_f16_e32 v90, v91, v90
	v_fma_f16 v91, v75, 0x3722, -v104
	v_add_f16_e64 v92, v146, v92
	v_add_f16_e32 v89, v95, v89
	v_fmac_f16_e64 v130, 0xb1e1, v67
	v_fma_f16 v95, v69, 0xbacd, -v118
	v_add_f16_e32 v90, v91, v90
	v_fma_f16 v91, v77, 0xb461, -v109
	v_add_f16_e64 v92, v147, v92
	v_fmac_f16_e32 v97, 0x3bf7, v76
	v_fmac_f16_e32 v122, 0x3964, v68
	v_add_f16_e32 v95, v95, v17
	v_add_f16_e32 v90, v91, v90
	v_fma_f16 v91, v78, 0x2de8, -v107
	v_add_f16_e64 v92, v130, v92
	v_fma_f16 v98, v70, 0x3722, -v119
	v_fmac_f16_e64 v132, 0xba62, v66
	v_add_f16_e32 v89, v97, v89
	v_add_f16_e32 v90, v91, v90
	;; [unrolled: 1-line block ×4, first 2 shown]
	v_fma_f16 v95, v71, 0x2de8, -v113
	v_add_f16_e64 v97, v132, v61
	v_fmac_f16_e32 v121, 0x3bb2, v62
	v_fma_f16 v98, v69, 0xb8d2, -v151
	v_fmac_f16_e64 v134, 0xb5c8, v63
	v_add_f16_e32 v92, v95, v92
	v_fma_f16 v95, v72, 0xb8d2, -v105
	v_add_f16_e32 v97, v121, v97
	v_add_f16_e32 v98, v98, v17
	v_fma_f16 v99, v70, 0xb461, -v155
	v_fmac_f16_e64 v139, 0xb836, v64
	v_add_f16_e32 v92, v95, v92
	v_fma_f16 v95, v74, 0x3b76, -v106
	v_add_f16_e64 v97, v134, v97
	v_add_f16_e32 v98, v99, v98
	v_fma_f16 v99, v71, 0x3b76, -v158
	v_fmac_f16_e64 v140, 0x3bf7, v65
	v_add_f16_e32 v92, v95, v92
	v_fma_f16 v95, v75, 0xbbdd, -v108
	v_add_f16_e64 v97, v139, v97
	;; [unrolled: 6-line block ×3, first 2 shown]
	v_add_f16_e32 v98, v99, v98
	v_fma_f16 v99, v74, 0x2de8, -v167
	v_fmac_f16_e32 v100, 0xbbb2, v76
	v_add_f16_e32 v92, v95, v92
	v_add_f16_e64 v95, v142, v97
	v_fmac_f16_e64 v174, 0xbbb2, v66
	v_add_f16_e32 v97, v99, v98
	v_fma_f16 v98, v75, 0x39e9, -v168
	v_fma_f16 v99, v78, 0xb461, -v111
	v_add_f16_e32 v91, v100, v91
	v_add_f16_e64 v100, v174, v61
	v_fmac_f16_e64 v129, 0x3836, v62
	v_add_f16_e32 v97, v98, v97
	v_fma_f16 v98, v77, 0xbbdd, -v152
	v_add_f16_e32 v92, v99, v92
	v_fma_f16 v99, v69, 0xb461, -v180
	v_fmac_f16_e64 v196, 0xbbf7, v66
	v_fmac_f16_e64 v197, 0xb1e1, v62
	v_add_f16_e32 v97, v98, v97
	v_add_f16_e64 v98, v129, v100
	v_add_f16_e32 v99, v99, v17
	v_fma_f16 v100, v70, 0xbacd, -v181
	v_add_f16_e64 v102, v196, v61
	v_fmac_f16_e64 v207, 0x3bb2, v63
	v_fmac_f16_e64 v208, 0x35c8, v64
	v_fma_f16 v101, v78, 0x3722, -v126
	v_add_f16_e32 v99, v100, v99
	v_fma_f16 v100, v71, 0x39e9, -v159
	v_add_f16_e64 v102, v197, v102
	v_fmac_f16_e64 v209, 0xbb29, v65
	v_add_f16_e32 v97, v101, v97
	v_fmac_f16_e64 v200, 0xb836, v67
	v_add_f16_e32 v99, v100, v99
	v_fma_f16 v100, v72, 0x3722, -v160
	v_add_f16_e64 v102, v207, v102
	v_fmac_f16_e64 v195, 0x3a62, v68
	v_fma_f16 v104, v70, 0xbbdd, -v190
	v_fmac_f16_e64 v202, 0xbb29, v66
	v_add_f16_e32 v99, v100, v99
	v_fma_f16 v100, v74, 0xbbdd, -v161
	v_add_f16_e64 v102, v208, v102
	v_fmac_f16_e64 v192, 0xba62, v62
	v_fma_f16 v105, v69, 0x3722, -v210
	v_fmac_f16_e64 v203, 0x31e1, v63
	v_add_f16_e32 v99, v100, v99
	v_fma_f16 v100, v75, 0x2de8, -v162
	v_add_f16_e64 v101, v209, v102
	v_fma_f16 v102, v69, 0x2de8, -v189
	v_add_f16_e32 v105, v105, v17
	v_fma_f16 v106, v70, 0xb8d2, -v212
	v_add_f16_e32 v99, v100, v99
	v_fma_f16 v100, v77, 0x3b76, -v163
	v_add_f16_e64 v101, v200, v101
	v_add_f16_e32 v102, v102, v17
	v_fmac_f16_e64 v204, 0x3bb2, v64
	v_add_f16_e32 v105, v106, v105
	v_add_f16_e32 v99, v100, v99
	v_fma_f16 v100, v78, 0xb8d2, -v149
	v_fma_f16 v106, v71, 0xbbdd, -v213
	v_fmac_f16_e64 v205, 0x3964, v65
	v_fmac_f16_e64 v206, 0xb5c8, v67
	;; [unrolled: 1-line block ×3, first 2 shown]
	v_add_f16_e32 v99, v100, v99
	v_add_f16_e64 v100, v195, v101
	v_add_f16_e32 v101, v104, v102
	v_fma_f16 v102, v71, 0xb461, -v182
	v_add_f16_e64 v104, v202, v61
	v_add_f16_e32 v105, v106, v105
	v_fma_f16 v106, v72, 0xb461, -v214
	v_fmac_f16_e64 v217, 0xb964, v66
	v_add_f16_e32 v101, v102, v101
	v_fma_f16 v102, v72, 0x3b76, -v141
	v_add_f16_e64 v104, v192, v104
	v_add_f16_e32 v105, v106, v105
	v_fma_f16 v106, v74, 0x39e9, -v215
	v_fmac_f16_e64 v199, 0xbbf7, v62
	v_add_f16_e32 v101, v102, v101
	v_fma_f16 v102, v74, 0x3722, -v144
	v_add_f16_e64 v104, v203, v104
	v_add_f16_e32 v105, v106, v105
	v_fma_f16 v106, v75, 0x3b76, -v216
	v_fma_f16 v107, v69, 0x39e9, -v219
	v_add_f16_e32 v101, v102, v101
	v_fma_f16 v102, v75, 0xbacd, -v150
	v_add_f16_e64 v104, v204, v104
	v_fmac_f16_e64 v218, 0xba62, v63
	v_add_f16_e32 v107, v107, v17
	v_fma_f16 v108, v70, 0x2de8, -v220
	v_add_f16_e32 v101, v102, v101
	v_fma_f16 v102, v77, 0xb8d2, -v153
	v_add_f16_e64 v104, v205, v104
	v_add_f16_e32 v60, v60, v61
	v_add_f16_e32 v18, v18, v17
	v_fmac_f16_e64 v177, 0xb5c8, v66
	v_add_f16_e32 v101, v102, v101
	v_fma_f16 v102, v78, 0x39e9, -v169
	v_add_f16_e64 v104, v206, v104
	v_add_f16_e32 v59, v59, v60
	v_add_f16_e32 v18, v21, v18
	v_fma_f16 v21, v72, 0xbbdd, -v171
	v_add_f16_e32 v101, v102, v101
	v_add_f16_e64 v102, v201, v104
	v_add_f16_e32 v104, v106, v105
	v_fma_f16 v105, v77, 0x2de8, -v211
	v_add_f16_e64 v106, v217, v61
	v_add_f16_e32 v58, v58, v59
	v_add_f16_e32 v18, v22, v18
	v_fma_f16 v22, v74, 0xbacd, -v172
	v_add_f16_e32 v104, v105, v104
	v_fma_f16 v105, v78, 0xbacd, -v198
	v_add_f16_e64 v106, v199, v106
	v_add_f16_e32 v57, v57, v58
	v_add_f16_e32 v18, v25, v18
	v_fmac_f16_e32 v127, 0xb964, v62
	v_add_f16_e32 v104, v105, v104
	v_add_f16_e64 v105, v218, v106
	v_add_f16_e32 v106, v108, v107
	v_fma_f16 v107, v71, 0xb8d2, -v221
	v_add_f16_e32 v25, v56, v57
	v_add_f16_e32 v18, v26, v18
	v_fmac_f16_e64 v170, 0xbb29, v63
	v_fmac_f16_e64 v175, 0xbbf7, v64
	v_add_f16_e32 v106, v107, v106
	v_fmac_f16_e64 v135, 0x3964, v63
	v_add_f16_e32 v18, v23, v18
	v_fma_f16 v23, v77, 0x3722, -v173
	v_fmac_f16_e64 v136, 0xbb29, v64
	v_add_f16_e32 v21, v21, v106
	v_add_f16_e64 v98, v135, v98
	v_add_f16_e32 v18, v24, v18
	v_add_f16_e64 v24, v177, v61
	v_fmac_f16_e64 v154, 0xb1e1, v64
	v_add_f16_e32 v21, v22, v21
	v_fma_f16 v22, v75, 0xb461, -v176
	v_add_f16_e32 v18, v19, v18
	v_add_f16_e64 v98, v136, v98
	v_fmac_f16_e64 v137, 0xb1e1, v65
	v_add_f16_e64 v105, v154, v105
	v_add_f16_e32 v21, v22, v21
	v_add_f16_e32 v22, v55, v25
	;; [unrolled: 1-line block ×4, first 2 shown]
	v_fmac_f16_e64 v156, 0x3836, v65
	v_add_f16_e32 v21, v23, v21
	v_add_f16_e32 v22, v54, v22
	v_fma_f16 v23, v78, 0x3b76, -v178
	v_add_f16_e32 v13, v13, v18
	v_fma_f16 v18, v70, 0x39e9, -v191
	v_add_f16_e64 v20, v170, v20
	v_add_f16_e32 v22, v53, v22
	v_add_f16_e32 v19, v23, v21
	v_fma_f16 v21, v69, 0x3b76, -v193
	v_add_f16_e32 v13, v14, v13
	v_fmac_f16_e32 v115, 0xbbb2, v65
	v_add_f16_e32 v22, v52, v22
	v_fma_f16 v223, 0xbacd, v77, v185
	v_add_f16_e32 v17, v21, v17
	v_add_f16_e32 v11, v11, v13
	v_add_f16_e64 v98, v137, v98
	v_add_f16_e32 v21, v51, v22
	v_fmac_f16_e64 v138, 0x3bf7, v67
	v_add_f16_e32 v14, v18, v17
	v_fma_f16 v17, v71, 0x3722, -v179
	v_add_f16_e64 v18, v175, v20
	v_add_f16_e32 v21, v39, v21
	v_add_f16_e32 v11, v12, v11
	v_add_f16_e64 v60, v156, v105
	v_add_f16_e32 v13, v17, v14
	v_fma_f16 v14, v72, 0x2de8, -v194
	v_add_f16_e32 v20, v38, v21
	v_add_f16_e32 v9, v9, v11
	v_fma_f16 v11, v74, 0xb461, -v183
	v_fmac_f16_e64 v164, 0x3bb2, v67
	v_add_f16_e32 v13, v14, v13
	v_add_f16_e32 v17, v37, v20
	;; [unrolled: 1-line block ×4, first 2 shown]
	v_fmac_f16_e32 v116, 0xba62, v67
	v_add_f16_e32 v10, v11, v13
	v_add_f16_e32 v14, v36, v17
	v_fma_f16 v11, v75, 0xb8d2, -v184
	v_add_f16_e32 v9, v33, v9
	v_add_f16_e64 v188, v223, v222
	v_fma_f16 v186, 0xbbdd, v78, v103
	v_add_f16_e32 v14, v35, v14
	v_fmac_f16_e64 v131, 0xb1e1, v68
	v_add_f16_e64 v98, v138, v98
	v_fmac_f16_e64 v133, 0xb5c8, v68
	v_add_f16_e64 v59, v164, v60
	v_add_f16_e32 v13, v34, v14
	v_fmac_f16_e64 v157, 0x3b29, v68
	v_add_f16_e32 v12, v116, v12
	v_fmac_f16_e64 v143, 0xb836, v68
	v_add_f16_e32 v10, v11, v10
	v_fma_f16 v11, v77, 0xbacd, -v185
	v_lshlrev_b32_e32 v13, 16, v13
	v_and_b32_e32 v9, 0xffff, v9
	v_and_b32_e32 v14, 0xffff, v32
	v_add_f16_e64 v93, v186, v188
	v_add_f16_e64 v95, v131, v95
	v_fmac_f16_e32 v120, 0x3b29, v76
	v_add_f16_e64 v98, v133, v98
	v_fmac_f16_e32 v125, 0xba62, v76
	v_fmac_f16_e64 v128, 0x3964, v76
	v_fmac_f16_e64 v187, 0xb836, v76
	v_add_f16_e64 v26, v157, v59
	v_fmac_f16_e64 v165, 0x35c8, v76
	v_add_f16_e64 v12, v143, v12
	v_fmac_f16_e32 v114, 0xb1e1, v76
	v_add_f16_e32 v10, v11, v10
	v_fma_f16 v11, v78, 0xbbdd, -v103
	v_or_b32_e32 v9, v13, v9
	v_lshl_add_u32 v13, v14, 2, v31
	v_pack_b32_f16 v14, v117, v112
	v_pack_b32_f16 v17, v93, v96
	v_add_f16_e32 v95, v120, v95
	v_add_f16_e32 v98, v125, v98
	v_pack_b32_f16 v18, v87, v86
	v_pack_b32_f16 v20, v94, v88
	v_add_f16_e64 v100, v128, v100
	v_add_f16_e64 v102, v187, v102
	v_pack_b32_f16 v21, v83, v82
	v_pack_b32_f16 v22, v85, v84
	v_add_f16_e64 v25, v165, v26
	v_add_f16_e32 v12, v114, v12
	v_add_f16_e32 v10, v11, v10
	ds_store_b32 v13, v9
	ds_store_2addr_b32 v13, v17, v14 offset0:1 offset1:2
	ds_store_2addr_b32 v13, v20, v18 offset0:3 offset1:4
	;; [unrolled: 1-line block ×3, first 2 shown]
	v_pack_b32_f16 v9, v79, v73
	v_pack_b32_f16 v11, v81, v80
	v_pack_b32_f16 v14, v92, v91
	v_pack_b32_f16 v17, v90, v89
	v_pack_b32_f16 v18, v99, v98
	v_pack_b32_f16 v20, v97, v95
	v_pack_b32_f16 v21, v104, v102
	v_pack_b32_f16 v22, v101, v100
	v_pack_b32_f16 v10, v10, v12
	v_pack_b32_f16 v12, v19, v25
	ds_store_2addr_b32 v13, v11, v9 offset0:7 offset1:8
	ds_store_2addr_b32 v13, v17, v14 offset0:9 offset1:10
	;; [unrolled: 1-line block ×5, first 2 shown]
.LBB0_13:
	s_wait_alu 0xfffe
	s_or_b32 exec_lo, exec_lo, s0
	global_wb scope:SCOPE_SE
	s_wait_dscnt 0x0
	s_barrier_signal -1
	s_barrier_wait -1
	global_inv scope:SCOPE_SE
	ds_load_2addr_b32 v[9:10], v40 offset1:17
	ds_load_2addr_b32 v[11:12], v40 offset0:34 offset1:51
	ds_load_2addr_b32 v[13:14], v40 offset0:68 offset1:85
	;; [unrolled: 1-line block ×4, first 2 shown]
	ds_load_b32 v21, v40 offset:680
	s_wait_dscnt 0x5
	v_lshrrev_b32_e32 v22, 16, v10
	s_wait_dscnt 0x4
	v_lshrrev_b32_e32 v23, 16, v11
	v_mul_f16_e32 v35, v50, v10
	v_lshrrev_b32_e32 v24, 16, v12
	s_wait_dscnt 0x3
	v_lshrrev_b32_e32 v25, 16, v13
	v_mul_f16_e32 v37, v49, v11
	v_mul_f16_e32 v39, v50, v22
	v_fma_f16 v22, v4, v22, -v35
	v_mul_f16_e32 v35, v49, v23
	v_lshrrev_b32_e32 v26, 16, v14
	v_fma_f16 v23, v5, v23, -v37
	v_mul_f16_e32 v37, v48, v24
	v_mul_f16_e32 v40, v47, v25
	v_fmac_f16_e32 v39, v4, v10
	v_fmac_f16_e32 v35, v5, v11
	v_lshrrev_b32_e32 v4, 16, v9
	v_mul_f16_e32 v5, v47, v13
	v_mul_f16_e32 v38, v48, v12
	v_fmac_f16_e32 v37, v6, v12
	v_fmac_f16_e32 v40, v7, v13
	v_add_f16_e32 v10, v22, v4
	v_mul_f16_e32 v11, v46, v26
	v_fma_f16 v5, v7, v25, -v5
	v_mul_f16_e32 v7, v46, v14
	v_add_f16_e32 v12, v39, v9
	v_fma_f16 v6, v6, v24, -v38
	v_add_f16_e32 v10, v10, v23
	v_fmac_f16_e32 v11, v0, v14
	v_fma_f16 v0, v0, v26, -v7
	v_add_f16_e32 v7, v12, v35
	s_wait_dscnt 0x2
	v_lshrrev_b32_e32 v31, 16, v17
	v_add_f16_e32 v10, v10, v6
	v_lshrrev_b32_e32 v32, 16, v18
	v_mul_f16_e32 v12, v45, v17
	v_add_f16_e32 v7, v7, v37
	v_mul_f16_e32 v13, v45, v31
	v_add_f16_e32 v10, v10, v5
	s_wait_dscnt 0x1
	v_lshrrev_b32_e32 v33, 16, v19
	v_mul_f16_e32 v14, v44, v32
	v_add_f16_e32 v7, v7, v40
	v_fmac_f16_e32 v13, v1, v17
	v_fma_f16 v1, v1, v31, -v12
	v_mul_f16_e32 v12, v44, v18
	v_add_f16_e32 v10, v10, v0
	v_add_f16_e32 v7, v7, v11
	v_lshrrev_b32_e32 v34, 16, v20
	v_fmac_f16_e32 v14, v2, v18
	v_mul_f16_e32 v17, v43, v33
	v_fma_f16 v2, v2, v32, -v12
	v_mul_f16_e32 v12, v43, v19
	v_add_f16_e32 v10, v10, v1
	v_add_f16_e32 v7, v7, v13
	s_wait_dscnt 0x0
	v_lshrrev_b32_e32 v36, 16, v21
	v_fmac_f16_e32 v17, v3, v19
	v_mul_f16_e32 v18, v42, v20
	v_fma_f16 v3, v3, v33, -v12
	v_add_f16_e32 v10, v10, v2
	v_mul_f16_e32 v12, v42, v34
	v_mul_f16_e32 v19, v41, v21
	v_add_f16_e32 v7, v7, v14
	v_fma_f16 v18, v15, v34, -v18
	v_add_f16_e32 v10, v10, v3
	v_fmac_f16_e32 v12, v15, v20
	v_mul_f16_e32 v15, v41, v36
	v_fma_f16 v19, v16, v36, -v19
	v_add_f16_e32 v7, v7, v17
	v_add_f16_e32 v10, v10, v18
	v_sub_f16_e32 v45, v23, v18
	v_fmac_f16_e32 v15, v16, v21
	v_sub_f16_e32 v16, v22, v19
	v_add_f16_e32 v7, v7, v12
	v_add_f16_e32 v10, v10, v19
	;; [unrolled: 1-line block ×4, first 2 shown]
	v_mul_f16_e32 v21, 0xb853, v16
	v_add_f16_e32 v7, v7, v15
	v_lshlrev_b32_e32 v10, 16, v10
	v_sub_f16_e32 v15, v39, v15
	v_mul_f16_e32 v22, 0x3abb, v19
	v_fmamk_f16 v24, v20, 0x3abb, v21
	v_and_b32_e32 v7, 0xffff, v7
	v_mul_f16_e32 v25, 0xbb47, v16
	v_mul_f16_e32 v31, 0x36a6, v19
	;; [unrolled: 1-line block ×8, first 2 shown]
	v_add_f16_e32 v47, v35, v12
	v_mul_f16_e32 v48, 0xbb47, v45
	v_add_f16_e32 v18, v23, v18
	v_or_b32_e32 v7, v10, v7
	v_fmamk_f16 v10, v15, 0x3853, v22
	v_add_f16_e32 v24, v24, v9
	v_fma_f16 v21, v20, 0x3abb, -v21
	v_fmac_f16_e32 v22, 0xb853, v15
	v_fmamk_f16 v26, v20, 0x36a6, v25
	v_fmamk_f16 v33, v15, 0x3b47, v31
	v_fma_f16 v25, v20, 0x36a6, -v25
	v_fmac_f16_e32 v31, 0xbb47, v15
	v_fmamk_f16 v34, v20, 0xb08e, v32
	v_fmamk_f16 v38, v15, 0x3beb, v36
	;; [unrolled: 4-line block ×4, first 2 shown]
	v_fma_f16 v16, v20, 0xbbad, -v16
	v_fmac_f16_e32 v19, 0xb482, v15
	v_sub_f16_e32 v12, v35, v12
	v_fmamk_f16 v15, v47, 0x36a6, v48
	v_mul_f16_e32 v20, 0x36a6, v18
	v_add_f16_e32 v10, v10, v4
	v_add_f16_e32 v21, v21, v9
	;; [unrolled: 1-line block ×20, first 2 shown]
	v_fmamk_f16 v16, v12, 0x3b47, v20
	v_mul_f16_e32 v19, 0xba0c, v45
	v_fma_f16 v24, v47, 0x36a6, -v48
	v_fmac_f16_e32 v20, 0xbb47, v12
	v_mul_f16_e32 v35, 0xb93d, v18
	v_add_f16_e32 v10, v16, v10
	v_fmamk_f16 v16, v47, 0xb93d, v19
	v_add_f16_e32 v21, v24, v21
	v_add_f16_e32 v20, v20, v22
	v_fmamk_f16 v22, v12, 0x3a0c, v35
	v_mul_f16_e32 v24, 0x3482, v45
	v_fma_f16 v19, v47, 0xb93d, -v19
	v_fmac_f16_e32 v35, 0xba0c, v12
	v_add_f16_e32 v16, v16, v26
	v_add_f16_e32 v22, v22, v33
	v_fmamk_f16 v26, v47, 0xbbad, v24
	v_mul_f16_e32 v33, 0xbbad, v18
	v_add_f16_e32 v19, v19, v25
	v_add_f16_e32 v25, v35, v31
	v_mul_f16_e32 v31, 0x3beb, v45
	v_add_f16_e32 v26, v26, v34
	v_fmamk_f16 v34, v12, 0xb482, v33
	v_fma_f16 v24, v47, 0xbbad, -v24
	v_fmac_f16_e32 v33, 0x3482, v12
	v_fmamk_f16 v35, v47, 0xb08e, v31
	v_mul_f16_e32 v46, 0xb08e, v18
	v_mul_f16_e32 v18, 0x3abb, v18
	v_add_f16_e32 v24, v24, v32
	v_add_f16_e32 v32, v33, v36
	v_add_f16_e32 v33, v35, v42
	v_fmamk_f16 v35, v12, 0xbbeb, v46
	v_fma_f16 v31, v47, 0xb08e, -v31
	v_fmac_f16_e32 v46, 0x3beb, v12
	v_mul_f16_e32 v36, 0x3853, v45
	v_fmamk_f16 v42, v12, 0xb853, v18
	v_add_f16_e32 v34, v34, v38
	v_add_f16_e32 v31, v31, v39
	;; [unrolled: 1-line block ×3, first 2 shown]
	v_sub_f16_e32 v41, v6, v3
	v_add_f16_e32 v3, v6, v3
	v_fmamk_f16 v38, v47, 0x3abb, v36
	v_add_f16_e32 v23, v42, v23
	v_add_f16_e32 v42, v37, v17
	v_mul_f16_e32 v6, 0xbbeb, v41
	v_fma_f16 v36, v47, 0x3abb, -v36
	v_fmac_f16_e32 v18, 0x3853, v12
	v_sub_f16_e32 v12, v37, v17
	v_mul_f16_e32 v17, 0xb08e, v3
	v_fmamk_f16 v37, v42, 0xb08e, v6
	v_add_f16_e32 v9, v36, v9
	v_add_f16_e32 v4, v18, v4
	v_mul_f16_e32 v18, 0x3482, v41
	v_fmamk_f16 v36, v12, 0x3beb, v17
	v_fmac_f16_e32 v17, 0xbbeb, v12
	v_add_f16_e32 v15, v37, v15
	v_fma_f16 v6, v42, 0xb08e, -v6
	v_fmamk_f16 v37, v42, 0xbbad, v18
	v_add_f16_e32 v10, v36, v10
	v_mul_f16_e32 v36, 0xbbad, v3
	v_add_f16_e32 v17, v17, v20
	v_mul_f16_e32 v20, 0x3b47, v41
	v_add_f16_e32 v35, v35, v43
	v_add_f16_e32 v6, v6, v21
	;; [unrolled: 1-line block ×3, first 2 shown]
	v_fmamk_f16 v21, v12, 0xb482, v36
	v_fma_f16 v18, v42, 0xbbad, -v18
	v_fmac_f16_e32 v36, 0x3482, v12
	v_mul_f16_e32 v37, 0x36a6, v3
	v_fmamk_f16 v43, v42, 0x36a6, v20
	v_add_f16_e32 v21, v21, v22
	v_add_f16_e32 v18, v18, v19
	;; [unrolled: 1-line block ×3, first 2 shown]
	v_fmamk_f16 v22, v12, 0xbb47, v37
	v_add_f16_e32 v25, v43, v26
	v_mul_f16_e32 v26, 0xb853, v41
	v_fma_f16 v20, v42, 0x36a6, -v20
	v_fmac_f16_e32 v37, 0x3b47, v12
	v_add_f16_e32 v22, v22, v34
	v_mul_f16_e32 v34, 0x3abb, v3
	v_fmamk_f16 v36, v42, 0x3abb, v26
	v_add_f16_e32 v20, v20, v24
	v_add_f16_e32 v24, v37, v32
	v_mul_f16_e32 v32, 0xba0c, v41
	v_add_f16_e32 v38, v38, v44
	v_fmamk_f16 v37, v12, 0x3853, v34
	v_add_f16_e32 v33, v36, v33
	v_fma_f16 v26, v42, 0x3abb, -v26
	v_fmac_f16_e32 v34, 0xb853, v12
	v_fmamk_f16 v36, v42, 0xb93d, v32
	v_mul_f16_e32 v3, 0xb93d, v3
	v_add_f16_e32 v35, v37, v35
	v_add_f16_e32 v26, v26, v31
	;; [unrolled: 1-line block ×4, first 2 shown]
	v_sub_f16_e32 v36, v5, v2
	v_add_f16_e32 v2, v5, v2
	v_fmamk_f16 v37, v12, 0x3a0c, v3
	v_fma_f16 v32, v42, 0xb93d, -v32
	v_add_f16_e32 v5, v40, v14
	v_mul_f16_e32 v38, 0xba0c, v36
	v_fmac_f16_e32 v3, 0xba0c, v12
	v_sub_f16_e32 v12, v40, v14
	v_mul_f16_e32 v14, 0xb93d, v2
	v_add_f16_e32 v23, v37, v23
	v_fmamk_f16 v37, v5, 0xb93d, v38
	v_add_f16_e32 v9, v32, v9
	v_add_f16_e32 v3, v3, v4
	v_fmamk_f16 v4, v12, 0x3a0c, v14
	v_mul_f16_e32 v32, 0x3beb, v36
	v_fmac_f16_e32 v14, 0xba0c, v12
	v_add_f16_e32 v15, v37, v15
	v_fma_f16 v37, v5, 0xb93d, -v38
	v_add_f16_e32 v4, v4, v10
	v_fmamk_f16 v10, v5, 0xb08e, v32
	v_mul_f16_e32 v38, 0xb08e, v2
	v_add_f16_e32 v14, v14, v17
	v_mul_f16_e32 v17, 0xb853, v36
	v_add_f16_e32 v6, v37, v6
	v_add_f16_e32 v10, v10, v16
	v_fmamk_f16 v16, v12, 0xbbeb, v38
	v_fma_f16 v32, v5, 0xb08e, -v32
	v_fmamk_f16 v37, v5, 0x3abb, v17
	v_mul_f16_e32 v39, 0x3abb, v2
	v_fma_f16 v17, v5, 0x3abb, -v17
	v_add_f16_e32 v16, v16, v21
	v_add_f16_e32 v18, v32, v18
	;; [unrolled: 1-line block ×3, first 2 shown]
	v_fmamk_f16 v25, v12, 0x3853, v39
	v_mul_f16_e32 v32, 0xb482, v36
	v_mul_f16_e32 v37, 0xbbad, v2
	v_add_f16_e32 v17, v17, v20
	v_mul_f16_e32 v36, 0x3b47, v36
	v_add_f16_e32 v22, v25, v22
	v_fmamk_f16 v25, v5, 0xbbad, v32
	v_fma_f16 v32, v5, 0xbbad, -v32
	v_fmamk_f16 v20, v12, 0x3482, v37
	v_fmac_f16_e32 v37, 0xb482, v12
	v_mul_f16_e32 v2, 0x36a6, v2
	v_add_f16_e32 v25, v25, v33
	v_add_f16_e32 v26, v32, v26
	v_sub_f16_e32 v32, v0, v1
	v_add_f16_e32 v20, v20, v35
	v_fmamk_f16 v33, v5, 0x36a6, v36
	v_add_f16_e32 v31, v37, v31
	v_add_f16_e32 v35, v11, v13
	v_mul_f16_e32 v37, 0xb482, v32
	v_add_f16_e32 v0, v0, v1
	v_fmac_f16_e32 v38, 0x3beb, v12
	v_fmac_f16_e32 v39, 0xb853, v12
	v_add_f16_e32 v33, v33, v34
	v_fmamk_f16 v34, v12, 0xbb47, v2
	v_fma_f16 v1, v5, 0x36a6, -v36
	v_fmac_f16_e32 v2, 0x3b47, v12
	v_sub_f16_e32 v5, v11, v13
	v_fmamk_f16 v11, v35, 0xbbad, v37
	v_mul_f16_e32 v12, 0xbbad, v0
	v_add_f16_e32 v1, v1, v9
	v_add_f16_e32 v2, v2, v3
	v_add_f16_e32 v13, v34, v23
	v_add_f16_e32 v3, v11, v15
	v_fmamk_f16 v9, v5, 0x3482, v12
	v_mul_f16_e32 v11, 0x3853, v32
	v_fmac_f16_e32 v12, 0xb482, v5
	v_mul_f16_e32 v23, 0x3abb, v0
	v_add_f16_e32 v19, v38, v19
	v_add_f16_e32 v4, v9, v4
	v_fmamk_f16 v9, v35, 0x3abb, v11
	v_fma_f16 v15, v35, 0xbbad, -v37
	v_add_f16_e32 v12, v12, v14
	v_fmamk_f16 v14, v5, 0xb853, v23
	v_fmac_f16_e32 v23, 0x3853, v5
	v_add_f16_e32 v9, v9, v10
	v_fma_f16 v10, v35, 0x3abb, -v11
	v_add_f16_e32 v6, v15, v6
	v_mul_f16_e32 v15, 0xba0c, v32
	v_add_f16_e32 v11, v14, v16
	v_mul_f16_e32 v16, 0xb93d, v0
	v_add_f16_e32 v10, v10, v18
	v_add_f16_e32 v18, v23, v19
	v_mul_f16_e32 v19, 0x3b47, v32
	v_fmamk_f16 v14, v35, 0xb93d, v15
	v_fma_f16 v15, v35, 0xb93d, -v15
	v_add_f16_e32 v24, v39, v24
	v_mul_f16_e32 v34, 0x36a6, v0
	v_fmamk_f16 v23, v35, 0x36a6, v19
	v_add_f16_e32 v14, v14, v21
	v_fmamk_f16 v21, v5, 0x3a0c, v16
	v_fmac_f16_e32 v16, 0xba0c, v5
	v_add_f16_e32 v15, v15, v17
	v_add_f16_e32 v17, v23, v25
	v_mul_f16_e32 v23, 0xbbeb, v32
	v_mul_f16_e32 v0, 0xb08e, v0
	v_add_f16_e32 v21, v21, v22
	v_add_f16_e32 v16, v16, v24
	v_fmamk_f16 v22, v5, 0xbb47, v34
	v_fmamk_f16 v24, v35, 0xb08e, v23
	;; [unrolled: 1-line block ×3, first 2 shown]
	v_fma_f16 v19, v35, 0x36a6, -v19
	v_fmac_f16_e32 v34, 0x3b47, v5
	v_fma_f16 v23, v35, 0xb08e, -v23
	v_fmac_f16_e32 v0, 0xbbeb, v5
	v_pack_b32_f16 v3, v3, v4
	v_add_f16_e32 v20, v22, v20
	v_add_f16_e32 v4, v24, v33
	v_add_f16_e32 v5, v25, v13
	v_add_f16_e32 v19, v19, v26
	v_add_f16_e32 v22, v34, v31
	v_add_f16_e32 v1, v23, v1
	v_add_f16_e32 v0, v0, v2
	ds_store_2addr_b32 v30, v7, v3 offset1:17
	v_pack_b32_f16 v2, v9, v11
	v_pack_b32_f16 v3, v14, v21
	;; [unrolled: 1-line block ×9, first 2 shown]
	ds_store_2addr_b32 v30, v2, v3 offset0:34 offset1:51
	ds_store_2addr_b32 v30, v7, v4 offset0:68 offset1:85
	;; [unrolled: 1-line block ×4, first 2 shown]
	ds_store_b32 v30, v6 offset:680
	global_wb scope:SCOPE_SE
	s_wait_dscnt 0x0
	s_barrier_signal -1
	s_barrier_wait -1
	global_inv scope:SCOPE_SE
	s_and_b32 exec_lo, exec_lo, vcc_lo
	s_cbranch_execz .LBB0_15
; %bb.14:
	global_load_b32 v0, v28, s[12:13]
	ds_load_b32 v1, v30
	s_mov_b32 s8, 0xb8d015e7
	s_mov_b32 s9, 0x3f75e75b
	v_mad_co_u64_u32 v[6:7], null, s4, v29, 0
	s_wait_dscnt 0x0
	v_lshrrev_b32_e32 v2, 16, v1
	s_wait_loadcnt 0x0
	v_lshrrev_b32_e32 v3, 16, v0
	s_delay_alu instid0(VALU_DEP_1) | instskip(SKIP_1) | instid1(VALU_DEP_2)
	v_mul_f16_e32 v4, v2, v3
	v_mul_f16_e32 v3, v1, v3
	v_fmac_f16_e32 v4, v1, v0
	s_delay_alu instid0(VALU_DEP_2) | instskip(NEXT) | instid1(VALU_DEP_2)
	v_fma_f16 v0, v0, v2, -v3
	v_cvt_f32_f16_e32 v1, v4
	s_delay_alu instid0(VALU_DEP_2) | instskip(SKIP_1) | instid1(VALU_DEP_3)
	v_cvt_f32_f16_e32 v2, v0
	v_mad_co_u64_u32 v[4:5], null, s6, v8, 0
	v_cvt_f64_f32_e32 v[0:1], v1
	s_delay_alu instid0(VALU_DEP_3) | instskip(SKIP_1) | instid1(VALU_DEP_2)
	v_cvt_f64_f32_e32 v[2:3], v2
	s_wait_alu 0xfffe
	v_mul_f64_e32 v[0:1], s[8:9], v[0:1]
	s_delay_alu instid0(VALU_DEP_2) | instskip(NEXT) | instid1(VALU_DEP_2)
	v_mul_f64_e32 v[2:3], s[8:9], v[2:3]
	v_and_or_b32 v0, 0x1ff, v1, v0
	s_delay_alu instid0(VALU_DEP_2)
	v_and_or_b32 v2, 0x1ff, v3, v2
	v_lshrrev_b32_e32 v9, 8, v1
	v_bfe_u32 v10, v1, 20, 11
	v_bfe_u32 v12, v3, 20, 11
	v_cmp_ne_u32_e32 vcc_lo, 0, v0
	v_lshrrev_b32_e32 v11, 8, v3
	v_mov_b32_e32 v0, v7
	v_sub_nc_u32_e32 v14, 0x3f1, v10
	v_sub_nc_u32_e32 v15, 0x3f1, v12
	v_cndmask_b32_e64 v13, 0, 1, vcc_lo
	v_cmp_ne_u32_e32 vcc_lo, 0, v2
	v_mad_co_u64_u32 v[7:8], null, s7, v8, v[5:6]
	v_add_nc_u32_e32 v10, 0xfffffc10, v10
	s_delay_alu instid0(VALU_DEP_4)
	v_and_or_b32 v13, 0xffe, v9, v13
	s_wait_alu 0xfffd
	v_cndmask_b32_e64 v2, 0, 1, vcc_lo
	v_add_nc_u32_e32 v12, 0xfffffc10, v12
	v_lshrrev_b32_e32 v3, 16, v3
	s_mul_u64 s[6:7], s[4:5], 44
	v_mov_b32_e32 v5, v7
	v_and_or_b32 v2, 0xffe, v11, v2
	v_med3_i32 v11, v14, 0, 13
	v_med3_i32 v14, v15, 0, 13
	v_or_b32_e32 v15, 0x1000, v13
	v_mad_co_u64_u32 v[8:9], null, s5, v29, v[0:1]
	v_or_b32_e32 v16, 0x1000, v2
	v_lshrrev_b32_e32 v1, 16, v1
	s_delay_alu instid0(VALU_DEP_4) | instskip(SKIP_1) | instid1(VALU_DEP_4)
	v_lshrrev_b32_e32 v0, v11, v15
	v_lshlrev_b64_e32 v[4:5], 2, v[4:5]
	v_lshrrev_b32_e32 v9, v14, v16
	v_mov_b32_e32 v7, v8
	s_delay_alu instid0(VALU_DEP_4) | instskip(NEXT) | instid1(VALU_DEP_3)
	v_lshlrev_b32_e32 v11, v11, v0
	v_lshlrev_b32_e32 v8, v14, v9
	v_lshl_or_b32 v14, v10, 12, v13
	s_delay_alu instid0(VALU_DEP_3) | instskip(SKIP_4) | instid1(VALU_DEP_2)
	v_cmp_ne_u32_e32 vcc_lo, v11, v15
	v_lshlrev_b64_e32 v[6:7], 2, v[6:7]
	s_wait_alu 0xfffd
	v_cndmask_b32_e64 v11, 0, 1, vcc_lo
	v_cmp_ne_u32_e32 vcc_lo, v8, v16
	v_or_b32_e32 v0, v0, v11
	s_wait_alu 0xfffd
	v_cndmask_b32_e64 v8, 0, 1, vcc_lo
	v_cmp_gt_i32_e32 vcc_lo, 1, v10
	v_lshl_or_b32 v11, v12, 12, v2
	s_delay_alu instid0(VALU_DEP_3)
	v_or_b32_e32 v8, v9, v8
	s_wait_alu 0xfffd
	v_cndmask_b32_e32 v0, v14, v0, vcc_lo
	v_cmp_gt_i32_e32 vcc_lo, 1, v12
	s_wait_alu 0xfffd
	v_cndmask_b32_e32 v8, v11, v8, vcc_lo
	v_cmp_ne_u32_e32 vcc_lo, 0, v13
	s_delay_alu instid0(VALU_DEP_2)
	v_and_b32_e32 v13, 7, v8
	s_wait_alu 0xfffd
	v_cndmask_b32_e64 v9, 0, 1, vcc_lo
	v_cmp_ne_u32_e32 vcc_lo, 0, v2
	v_lshrrev_b32_e32 v8, 2, v8
	v_cmp_lt_i32_e64 s1, 5, v13
	v_cmp_eq_u32_e64 s2, 3, v13
	s_wait_alu 0xfffd
	v_cndmask_b32_e64 v2, 0, 1, vcc_lo
	v_lshl_or_b32 v9, v9, 9, 0x7c00
	s_delay_alu instid0(VALU_DEP_2) | instskip(SKIP_2) | instid1(VALU_DEP_2)
	v_lshl_or_b32 v2, v2, 9, 0x7c00
	v_and_b32_e32 v11, 7, v0
	v_lshrrev_b32_e32 v0, 2, v0
	v_cmp_lt_i32_e32 vcc_lo, 5, v11
	v_cmp_eq_u32_e64 s0, 3, v11
	s_delay_alu instid0(VALU_DEP_1)
	s_or_b32 vcc_lo, s0, vcc_lo
	s_wait_alu 0xfffe
	v_add_co_ci_u32_e32 v0, vcc_lo, 0, v0, vcc_lo
	s_or_b32 vcc_lo, s2, s1
	s_wait_alu 0xfffe
	v_add_co_ci_u32_e32 v8, vcc_lo, 0, v8, vcc_lo
	v_cmp_gt_i32_e32 vcc_lo, 31, v10
	s_wait_alu 0xfffd
	v_cndmask_b32_e32 v0, 0x7c00, v0, vcc_lo
	v_cmp_gt_i32_e32 vcc_lo, 31, v12
	s_wait_alu 0xfffd
	v_cndmask_b32_e32 v8, 0x7c00, v8, vcc_lo
	v_cmp_eq_u32_e32 vcc_lo, 0x40f, v10
	s_wait_alu 0xfffd
	v_cndmask_b32_e32 v0, v0, v9, vcc_lo
	v_cmp_eq_u32_e32 vcc_lo, 0x40f, v12
	s_wait_alu 0xfffd
	v_cndmask_b32_e32 v2, v8, v2, vcc_lo
	s_delay_alu instid0(VALU_DEP_3)
	v_and_or_b32 v8, 0x8000, v1, v0
	v_add_co_u32 v0, vcc_lo, s14, v4
	s_wait_alu 0xfffd
	v_add_co_ci_u32_e32 v1, vcc_lo, s15, v5, vcc_lo
	v_and_or_b32 v4, 0x8000, v3, v2
	v_and_b32_e32 v5, 0xffff, v8
	v_add_co_u32 v2, vcc_lo, v0, v6
	s_wait_alu 0xfffd
	v_add_co_ci_u32_e32 v3, vcc_lo, v1, v7, vcc_lo
	s_delay_alu instid0(VALU_DEP_3)
	v_lshl_or_b32 v4, v4, 16, v5
	global_store_b32 v[2:3], v4, off
	global_load_b32 v6, v28, s[12:13] offset:44
	ds_load_2addr_b32 v[4:5], v30 offset0:11 offset1:22
	s_wait_dscnt 0x0
	v_lshrrev_b32_e32 v7, 16, v4
	s_wait_loadcnt 0x0
	v_lshrrev_b32_e32 v8, 16, v6
	s_delay_alu instid0(VALU_DEP_1) | instskip(SKIP_1) | instid1(VALU_DEP_2)
	v_mul_f16_e32 v9, v7, v8
	v_mul_f16_e32 v8, v4, v8
	v_fmac_f16_e32 v9, v4, v6
	s_delay_alu instid0(VALU_DEP_2) | instskip(NEXT) | instid1(VALU_DEP_2)
	v_fma_f16 v4, v6, v7, -v8
	v_cvt_f32_f16_e32 v6, v9
	s_delay_alu instid0(VALU_DEP_2) | instskip(NEXT) | instid1(VALU_DEP_2)
	v_cvt_f32_f16_e32 v4, v4
	v_cvt_f64_f32_e32 v[6:7], v6
	s_delay_alu instid0(VALU_DEP_2) | instskip(NEXT) | instid1(VALU_DEP_2)
	v_cvt_f64_f32_e32 v[8:9], v4
	v_mul_f64_e32 v[6:7], s[8:9], v[6:7]
	s_delay_alu instid0(VALU_DEP_2) | instskip(NEXT) | instid1(VALU_DEP_2)
	v_mul_f64_e32 v[8:9], s[8:9], v[8:9]
	v_and_or_b32 v4, 0x1ff, v7, v6
	s_delay_alu instid0(VALU_DEP_2)
	v_and_or_b32 v8, 0x1ff, v9, v8
	v_lshrrev_b32_e32 v6, 8, v7
	v_bfe_u32 v10, v7, 20, 11
	v_lshrrev_b32_e32 v11, 8, v9
	v_cmp_ne_u32_e32 vcc_lo, 0, v4
	v_bfe_u32 v12, v9, 20, 11
	v_lshrrev_b32_e32 v7, 16, v7
	v_sub_nc_u32_e32 v13, 0x3f1, v10
	v_add_nc_u32_e32 v10, 0xfffffc10, v10
	s_wait_alu 0xfffd
	v_cndmask_b32_e64 v4, 0, 1, vcc_lo
	v_cmp_ne_u32_e32 vcc_lo, 0, v8
	v_lshrrev_b32_e32 v9, 16, v9
	s_delay_alu instid0(VALU_DEP_3) | instskip(SKIP_4) | instid1(VALU_DEP_3)
	v_and_or_b32 v4, 0xffe, v6, v4
	s_wait_alu 0xfffd
	v_cndmask_b32_e64 v8, 0, 1, vcc_lo
	v_sub_nc_u32_e32 v6, 0x3f1, v12
	v_add_nc_u32_e32 v12, 0xfffffc10, v12
	v_and_or_b32 v8, 0xffe, v11, v8
	v_med3_i32 v11, v13, 0, 13
	v_or_b32_e32 v13, 0x1000, v4
	v_med3_i32 v6, v6, 0, 13
	s_delay_alu instid0(VALU_DEP_4) | instskip(NEXT) | instid1(VALU_DEP_3)
	v_or_b32_e32 v14, 0x1000, v8
	v_lshrrev_b32_e32 v15, v11, v13
	s_delay_alu instid0(VALU_DEP_2) | instskip(NEXT) | instid1(VALU_DEP_2)
	v_lshrrev_b32_e32 v16, v6, v14
	v_lshlrev_b32_e32 v11, v11, v15
	s_delay_alu instid0(VALU_DEP_2) | instskip(NEXT) | instid1(VALU_DEP_2)
	v_lshlrev_b32_e32 v6, v6, v16
	v_cmp_ne_u32_e32 vcc_lo, v11, v13
	v_lshl_or_b32 v13, v10, 12, v4
	s_wait_alu 0xfffd
	v_cndmask_b32_e64 v11, 0, 1, vcc_lo
	v_cmp_ne_u32_e32 vcc_lo, v6, v14
	v_lshl_or_b32 v14, v12, 12, v8
	s_delay_alu instid0(VALU_DEP_3) | instskip(SKIP_3) | instid1(VALU_DEP_2)
	v_or_b32_e32 v11, v15, v11
	s_wait_alu 0xfffd
	v_cndmask_b32_e64 v6, 0, 1, vcc_lo
	v_cmp_gt_i32_e32 vcc_lo, 1, v10
	v_or_b32_e32 v6, v16, v6
	s_wait_alu 0xfffd
	v_cndmask_b32_e32 v11, v13, v11, vcc_lo
	v_cmp_gt_i32_e32 vcc_lo, 1, v12
	s_wait_alu 0xfffd
	s_delay_alu instid0(VALU_DEP_2) | instskip(SKIP_2) | instid1(VALU_DEP_3)
	v_dual_cndmask_b32 v6, v14, v6 :: v_dual_and_b32 v13, 7, v11
	v_cmp_ne_u32_e32 vcc_lo, 0, v4
	v_lshrrev_b32_e32 v11, 2, v11
	v_cmp_eq_u32_e64 s0, 3, v13
	s_delay_alu instid0(VALU_DEP_4)
	v_and_b32_e32 v14, 7, v6
	s_wait_alu 0xfffd
	v_cndmask_b32_e64 v4, 0, 1, vcc_lo
	v_cmp_ne_u32_e32 vcc_lo, 0, v8
	v_lshrrev_b32_e32 v6, 2, v6
	v_cmp_lt_i32_e64 s1, 5, v14
	v_cmp_eq_u32_e64 s2, 3, v14
	s_wait_alu 0xfffd
	v_cndmask_b32_e64 v8, 0, 1, vcc_lo
	v_cmp_lt_i32_e32 vcc_lo, 5, v13
	v_lshl_or_b32 v4, v4, 9, 0x7c00
	s_delay_alu instid0(VALU_DEP_3)
	v_lshl_or_b32 v8, v8, 9, 0x7c00
	s_or_b32 vcc_lo, s0, vcc_lo
	s_wait_alu 0xfffe
	v_add_co_ci_u32_e32 v11, vcc_lo, 0, v11, vcc_lo
	s_or_b32 vcc_lo, s2, s1
	s_wait_alu 0xfffe
	v_add_co_ci_u32_e32 v6, vcc_lo, 0, v6, vcc_lo
	v_cmp_gt_i32_e32 vcc_lo, 31, v10
	s_wait_alu 0xfffd
	v_cndmask_b32_e32 v11, 0x7c00, v11, vcc_lo
	v_cmp_gt_i32_e32 vcc_lo, 31, v12
	s_wait_alu 0xfffd
	v_cndmask_b32_e32 v6, 0x7c00, v6, vcc_lo
	v_cmp_eq_u32_e32 vcc_lo, 0x40f, v10
	s_wait_alu 0xfffd
	v_cndmask_b32_e32 v4, v11, v4, vcc_lo
	v_cmp_eq_u32_e32 vcc_lo, 0x40f, v12
	s_delay_alu instid0(VALU_DEP_2)
	v_and_or_b32 v4, 0x8000, v7, v4
	s_wait_alu 0xfffd
	v_cndmask_b32_e32 v6, v6, v8, vcc_lo
	v_add_co_u32 v2, vcc_lo, v2, s6
	s_wait_alu 0xfffd
	v_add_co_ci_u32_e32 v3, vcc_lo, s7, v3, vcc_lo
	s_delay_alu instid0(VALU_DEP_3) | instskip(SKIP_1) | instid1(VALU_DEP_1)
	v_and_or_b32 v6, 0x8000, v9, v6
	v_and_b32_e32 v4, 0xffff, v4
	v_lshl_or_b32 v4, v6, 16, v4
	v_lshrrev_b32_e32 v6, 16, v5
	global_store_b32 v[2:3], v4, off
	global_load_b32 v4, v28, s[12:13] offset:88
	s_wait_loadcnt 0x0
	v_lshrrev_b32_e32 v7, 16, v4
	s_delay_alu instid0(VALU_DEP_1) | instskip(SKIP_1) | instid1(VALU_DEP_2)
	v_mul_f16_e32 v8, v6, v7
	v_mul_f16_e32 v7, v5, v7
	v_fmac_f16_e32 v8, v5, v4
	s_delay_alu instid0(VALU_DEP_2) | instskip(NEXT) | instid1(VALU_DEP_2)
	v_fma_f16 v4, v4, v6, -v7
	v_cvt_f32_f16_e32 v5, v8
	s_delay_alu instid0(VALU_DEP_2) | instskip(NEXT) | instid1(VALU_DEP_2)
	v_cvt_f32_f16_e32 v6, v4
	v_cvt_f64_f32_e32 v[4:5], v5
	s_delay_alu instid0(VALU_DEP_2) | instskip(NEXT) | instid1(VALU_DEP_2)
	v_cvt_f64_f32_e32 v[6:7], v6
	v_mul_f64_e32 v[4:5], s[8:9], v[4:5]
	s_delay_alu instid0(VALU_DEP_2) | instskip(NEXT) | instid1(VALU_DEP_2)
	v_mul_f64_e32 v[6:7], s[8:9], v[6:7]
	v_and_or_b32 v4, 0x1ff, v5, v4
	s_delay_alu instid0(VALU_DEP_2)
	v_and_or_b32 v6, 0x1ff, v7, v6
	v_lshrrev_b32_e32 v8, 8, v5
	v_bfe_u32 v9, v5, 20, 11
	v_lshrrev_b32_e32 v10, 8, v7
	v_cmp_ne_u32_e32 vcc_lo, 0, v4
	v_bfe_u32 v11, v7, 20, 11
	v_lshrrev_b32_e32 v5, 16, v5
	v_sub_nc_u32_e32 v12, 0x3f1, v9
	v_add_nc_u32_e32 v9, 0xfffffc10, v9
	s_wait_alu 0xfffd
	v_cndmask_b32_e64 v4, 0, 1, vcc_lo
	v_cmp_ne_u32_e32 vcc_lo, 0, v6
	v_lshrrev_b32_e32 v7, 16, v7
	s_delay_alu instid0(VALU_DEP_3) | instskip(SKIP_4) | instid1(VALU_DEP_3)
	v_and_or_b32 v4, 0xffe, v8, v4
	s_wait_alu 0xfffd
	v_cndmask_b32_e64 v6, 0, 1, vcc_lo
	v_sub_nc_u32_e32 v8, 0x3f1, v11
	v_add_nc_u32_e32 v11, 0xfffffc10, v11
	v_and_or_b32 v6, 0xffe, v10, v6
	v_med3_i32 v10, v12, 0, 13
	v_or_b32_e32 v12, 0x1000, v4
	v_med3_i32 v8, v8, 0, 13
	s_delay_alu instid0(VALU_DEP_4) | instskip(NEXT) | instid1(VALU_DEP_3)
	v_or_b32_e32 v13, 0x1000, v6
	v_lshrrev_b32_e32 v14, v10, v12
	s_delay_alu instid0(VALU_DEP_2) | instskip(NEXT) | instid1(VALU_DEP_2)
	v_lshrrev_b32_e32 v15, v8, v13
	v_lshlrev_b32_e32 v10, v10, v14
	s_delay_alu instid0(VALU_DEP_2) | instskip(NEXT) | instid1(VALU_DEP_2)
	v_lshlrev_b32_e32 v8, v8, v15
	v_cmp_ne_u32_e32 vcc_lo, v10, v12
	v_lshl_or_b32 v12, v9, 12, v4
	s_wait_alu 0xfffd
	v_cndmask_b32_e64 v10, 0, 1, vcc_lo
	v_cmp_ne_u32_e32 vcc_lo, v8, v13
	v_lshl_or_b32 v13, v11, 12, v6
	s_delay_alu instid0(VALU_DEP_3) | instskip(SKIP_3) | instid1(VALU_DEP_2)
	v_or_b32_e32 v10, v14, v10
	s_wait_alu 0xfffd
	v_cndmask_b32_e64 v8, 0, 1, vcc_lo
	v_cmp_gt_i32_e32 vcc_lo, 1, v9
	v_or_b32_e32 v8, v15, v8
	s_wait_alu 0xfffd
	v_cndmask_b32_e32 v10, v12, v10, vcc_lo
	v_cmp_gt_i32_e32 vcc_lo, 1, v11
	s_delay_alu instid0(VALU_DEP_2)
	v_and_b32_e32 v12, 7, v10
	s_wait_alu 0xfffd
	v_cndmask_b32_e32 v8, v13, v8, vcc_lo
	v_cmp_ne_u32_e32 vcc_lo, 0, v4
	v_lshrrev_b32_e32 v10, 2, v10
	v_cmp_eq_u32_e64 s0, 3, v12
	s_delay_alu instid0(VALU_DEP_4)
	v_and_b32_e32 v13, 7, v8
	s_wait_alu 0xfffd
	v_cndmask_b32_e64 v4, 0, 1, vcc_lo
	v_cmp_ne_u32_e32 vcc_lo, 0, v6
	v_lshrrev_b32_e32 v8, 2, v8
	v_cmp_lt_i32_e64 s1, 5, v13
	v_cmp_eq_u32_e64 s2, 3, v13
	s_wait_alu 0xfffd
	v_cndmask_b32_e64 v6, 0, 1, vcc_lo
	v_cmp_lt_i32_e32 vcc_lo, 5, v12
	v_lshl_or_b32 v4, v4, 9, 0x7c00
	s_delay_alu instid0(VALU_DEP_3)
	v_lshl_or_b32 v6, v6, 9, 0x7c00
	s_or_b32 vcc_lo, s0, vcc_lo
	s_wait_alu 0xfffe
	v_add_co_ci_u32_e32 v10, vcc_lo, 0, v10, vcc_lo
	s_or_b32 vcc_lo, s2, s1
	s_wait_alu 0xfffe
	v_add_co_ci_u32_e32 v8, vcc_lo, 0, v8, vcc_lo
	v_cmp_gt_i32_e32 vcc_lo, 31, v9
	s_wait_alu 0xfffd
	v_cndmask_b32_e32 v10, 0x7c00, v10, vcc_lo
	v_cmp_gt_i32_e32 vcc_lo, 31, v11
	s_wait_alu 0xfffd
	v_cndmask_b32_e32 v8, 0x7c00, v8, vcc_lo
	v_cmp_eq_u32_e32 vcc_lo, 0x40f, v9
	s_wait_alu 0xfffd
	v_cndmask_b32_e32 v4, v10, v4, vcc_lo
	v_cmp_eq_u32_e32 vcc_lo, 0x40f, v11
	s_delay_alu instid0(VALU_DEP_2)
	v_and_or_b32 v4, 0x8000, v5, v4
	s_wait_alu 0xfffd
	v_cndmask_b32_e32 v6, v8, v6, vcc_lo
	v_add_co_u32 v2, vcc_lo, v2, s6
	s_wait_alu 0xfffd
	v_add_co_ci_u32_e32 v3, vcc_lo, s7, v3, vcc_lo
	s_delay_alu instid0(VALU_DEP_3) | instskip(SKIP_1) | instid1(VALU_DEP_1)
	v_and_or_b32 v5, 0x8000, v7, v6
	v_and_b32_e32 v4, 0xffff, v4
	v_lshl_or_b32 v4, v5, 16, v4
	global_store_b32 v[2:3], v4, off
	global_load_b32 v6, v28, s[12:13] offset:132
	ds_load_2addr_b32 v[4:5], v30 offset0:33 offset1:44
	s_wait_dscnt 0x0
	v_lshrrev_b32_e32 v7, 16, v4
	s_wait_loadcnt 0x0
	v_lshrrev_b32_e32 v8, 16, v6
	s_delay_alu instid0(VALU_DEP_1) | instskip(SKIP_1) | instid1(VALU_DEP_2)
	v_mul_f16_e32 v9, v7, v8
	v_mul_f16_e32 v8, v4, v8
	v_fmac_f16_e32 v9, v4, v6
	s_delay_alu instid0(VALU_DEP_2) | instskip(NEXT) | instid1(VALU_DEP_2)
	v_fma_f16 v4, v6, v7, -v8
	v_cvt_f32_f16_e32 v6, v9
	s_delay_alu instid0(VALU_DEP_2) | instskip(NEXT) | instid1(VALU_DEP_2)
	v_cvt_f32_f16_e32 v4, v4
	v_cvt_f64_f32_e32 v[6:7], v6
	s_delay_alu instid0(VALU_DEP_2) | instskip(NEXT) | instid1(VALU_DEP_2)
	v_cvt_f64_f32_e32 v[8:9], v4
	v_mul_f64_e32 v[6:7], s[8:9], v[6:7]
	s_delay_alu instid0(VALU_DEP_2) | instskip(NEXT) | instid1(VALU_DEP_2)
	v_mul_f64_e32 v[8:9], s[8:9], v[8:9]
	v_and_or_b32 v4, 0x1ff, v7, v6
	s_delay_alu instid0(VALU_DEP_2)
	v_and_or_b32 v8, 0x1ff, v9, v8
	v_lshrrev_b32_e32 v6, 8, v7
	v_bfe_u32 v10, v7, 20, 11
	v_lshrrev_b32_e32 v11, 8, v9
	v_cmp_ne_u32_e32 vcc_lo, 0, v4
	v_bfe_u32 v12, v9, 20, 11
	v_lshrrev_b32_e32 v7, 16, v7
	v_sub_nc_u32_e32 v13, 0x3f1, v10
	v_add_nc_u32_e32 v10, 0xfffffc10, v10
	s_wait_alu 0xfffd
	v_cndmask_b32_e64 v4, 0, 1, vcc_lo
	v_cmp_ne_u32_e32 vcc_lo, 0, v8
	v_lshrrev_b32_e32 v9, 16, v9
	s_delay_alu instid0(VALU_DEP_3) | instskip(SKIP_4) | instid1(VALU_DEP_3)
	v_and_or_b32 v4, 0xffe, v6, v4
	s_wait_alu 0xfffd
	v_cndmask_b32_e64 v8, 0, 1, vcc_lo
	v_sub_nc_u32_e32 v6, 0x3f1, v12
	v_add_nc_u32_e32 v12, 0xfffffc10, v12
	v_and_or_b32 v8, 0xffe, v11, v8
	v_med3_i32 v11, v13, 0, 13
	v_or_b32_e32 v13, 0x1000, v4
	v_med3_i32 v6, v6, 0, 13
	s_delay_alu instid0(VALU_DEP_4) | instskip(NEXT) | instid1(VALU_DEP_3)
	v_or_b32_e32 v14, 0x1000, v8
	v_lshrrev_b32_e32 v15, v11, v13
	s_delay_alu instid0(VALU_DEP_2) | instskip(NEXT) | instid1(VALU_DEP_2)
	v_lshrrev_b32_e32 v16, v6, v14
	v_lshlrev_b32_e32 v11, v11, v15
	s_delay_alu instid0(VALU_DEP_2) | instskip(NEXT) | instid1(VALU_DEP_2)
	v_lshlrev_b32_e32 v6, v6, v16
	v_cmp_ne_u32_e32 vcc_lo, v11, v13
	v_lshl_or_b32 v13, v10, 12, v4
	s_wait_alu 0xfffd
	v_cndmask_b32_e64 v11, 0, 1, vcc_lo
	v_cmp_ne_u32_e32 vcc_lo, v6, v14
	v_lshl_or_b32 v14, v12, 12, v8
	s_delay_alu instid0(VALU_DEP_3) | instskip(SKIP_3) | instid1(VALU_DEP_2)
	v_or_b32_e32 v11, v15, v11
	s_wait_alu 0xfffd
	v_cndmask_b32_e64 v6, 0, 1, vcc_lo
	v_cmp_gt_i32_e32 vcc_lo, 1, v10
	v_or_b32_e32 v6, v16, v6
	s_wait_alu 0xfffd
	v_cndmask_b32_e32 v11, v13, v11, vcc_lo
	v_cmp_gt_i32_e32 vcc_lo, 1, v12
	s_wait_alu 0xfffd
	s_delay_alu instid0(VALU_DEP_2) | instskip(SKIP_2) | instid1(VALU_DEP_3)
	v_dual_cndmask_b32 v6, v14, v6 :: v_dual_and_b32 v13, 7, v11
	v_cmp_ne_u32_e32 vcc_lo, 0, v4
	v_lshrrev_b32_e32 v11, 2, v11
	v_cmp_eq_u32_e64 s0, 3, v13
	s_delay_alu instid0(VALU_DEP_4)
	v_and_b32_e32 v14, 7, v6
	s_wait_alu 0xfffd
	v_cndmask_b32_e64 v4, 0, 1, vcc_lo
	v_cmp_ne_u32_e32 vcc_lo, 0, v8
	v_lshrrev_b32_e32 v6, 2, v6
	v_cmp_lt_i32_e64 s1, 5, v14
	v_cmp_eq_u32_e64 s2, 3, v14
	s_wait_alu 0xfffd
	v_cndmask_b32_e64 v8, 0, 1, vcc_lo
	v_cmp_lt_i32_e32 vcc_lo, 5, v13
	v_lshl_or_b32 v4, v4, 9, 0x7c00
	s_delay_alu instid0(VALU_DEP_3)
	v_lshl_or_b32 v8, v8, 9, 0x7c00
	s_or_b32 vcc_lo, s0, vcc_lo
	s_wait_alu 0xfffe
	v_add_co_ci_u32_e32 v11, vcc_lo, 0, v11, vcc_lo
	s_or_b32 vcc_lo, s2, s1
	s_wait_alu 0xfffe
	v_add_co_ci_u32_e32 v6, vcc_lo, 0, v6, vcc_lo
	v_cmp_gt_i32_e32 vcc_lo, 31, v10
	s_wait_alu 0xfffd
	v_cndmask_b32_e32 v11, 0x7c00, v11, vcc_lo
	v_cmp_gt_i32_e32 vcc_lo, 31, v12
	s_wait_alu 0xfffd
	v_cndmask_b32_e32 v6, 0x7c00, v6, vcc_lo
	v_cmp_eq_u32_e32 vcc_lo, 0x40f, v10
	s_wait_alu 0xfffd
	v_cndmask_b32_e32 v4, v11, v4, vcc_lo
	v_cmp_eq_u32_e32 vcc_lo, 0x40f, v12
	s_delay_alu instid0(VALU_DEP_2)
	v_and_or_b32 v4, 0x8000, v7, v4
	s_wait_alu 0xfffd
	v_cndmask_b32_e32 v6, v6, v8, vcc_lo
	v_add_co_u32 v2, vcc_lo, v2, s6
	s_wait_alu 0xfffd
	v_add_co_ci_u32_e32 v3, vcc_lo, s7, v3, vcc_lo
	s_delay_alu instid0(VALU_DEP_3) | instskip(SKIP_1) | instid1(VALU_DEP_1)
	v_and_or_b32 v6, 0x8000, v9, v6
	v_and_b32_e32 v4, 0xffff, v4
	v_lshl_or_b32 v4, v6, 16, v4
	v_lshrrev_b32_e32 v6, 16, v5
	global_store_b32 v[2:3], v4, off
	global_load_b32 v4, v28, s[12:13] offset:176
	s_wait_loadcnt 0x0
	v_lshrrev_b32_e32 v7, 16, v4
	s_delay_alu instid0(VALU_DEP_1) | instskip(SKIP_1) | instid1(VALU_DEP_2)
	v_mul_f16_e32 v8, v6, v7
	v_mul_f16_e32 v7, v5, v7
	v_fmac_f16_e32 v8, v5, v4
	s_delay_alu instid0(VALU_DEP_2) | instskip(NEXT) | instid1(VALU_DEP_2)
	v_fma_f16 v4, v4, v6, -v7
	v_cvt_f32_f16_e32 v5, v8
	s_delay_alu instid0(VALU_DEP_2) | instskip(NEXT) | instid1(VALU_DEP_2)
	v_cvt_f32_f16_e32 v6, v4
	v_cvt_f64_f32_e32 v[4:5], v5
	s_delay_alu instid0(VALU_DEP_2) | instskip(NEXT) | instid1(VALU_DEP_2)
	v_cvt_f64_f32_e32 v[6:7], v6
	v_mul_f64_e32 v[4:5], s[8:9], v[4:5]
	s_delay_alu instid0(VALU_DEP_2) | instskip(NEXT) | instid1(VALU_DEP_2)
	v_mul_f64_e32 v[6:7], s[8:9], v[6:7]
	v_and_or_b32 v4, 0x1ff, v5, v4
	s_delay_alu instid0(VALU_DEP_2)
	v_and_or_b32 v6, 0x1ff, v7, v6
	v_lshrrev_b32_e32 v8, 8, v5
	v_bfe_u32 v9, v5, 20, 11
	v_lshrrev_b32_e32 v10, 8, v7
	v_cmp_ne_u32_e32 vcc_lo, 0, v4
	v_bfe_u32 v11, v7, 20, 11
	v_lshrrev_b32_e32 v5, 16, v5
	v_sub_nc_u32_e32 v12, 0x3f1, v9
	v_add_nc_u32_e32 v9, 0xfffffc10, v9
	s_wait_alu 0xfffd
	v_cndmask_b32_e64 v4, 0, 1, vcc_lo
	v_cmp_ne_u32_e32 vcc_lo, 0, v6
	v_lshrrev_b32_e32 v7, 16, v7
	s_delay_alu instid0(VALU_DEP_3) | instskip(SKIP_4) | instid1(VALU_DEP_3)
	v_and_or_b32 v4, 0xffe, v8, v4
	s_wait_alu 0xfffd
	v_cndmask_b32_e64 v6, 0, 1, vcc_lo
	v_sub_nc_u32_e32 v8, 0x3f1, v11
	v_add_nc_u32_e32 v11, 0xfffffc10, v11
	v_and_or_b32 v6, 0xffe, v10, v6
	v_med3_i32 v10, v12, 0, 13
	v_or_b32_e32 v12, 0x1000, v4
	v_med3_i32 v8, v8, 0, 13
	s_delay_alu instid0(VALU_DEP_4) | instskip(NEXT) | instid1(VALU_DEP_3)
	v_or_b32_e32 v13, 0x1000, v6
	v_lshrrev_b32_e32 v14, v10, v12
	s_delay_alu instid0(VALU_DEP_2) | instskip(NEXT) | instid1(VALU_DEP_2)
	v_lshrrev_b32_e32 v15, v8, v13
	v_lshlrev_b32_e32 v10, v10, v14
	s_delay_alu instid0(VALU_DEP_2) | instskip(NEXT) | instid1(VALU_DEP_2)
	v_lshlrev_b32_e32 v8, v8, v15
	v_cmp_ne_u32_e32 vcc_lo, v10, v12
	v_lshl_or_b32 v12, v9, 12, v4
	s_wait_alu 0xfffd
	v_cndmask_b32_e64 v10, 0, 1, vcc_lo
	v_cmp_ne_u32_e32 vcc_lo, v8, v13
	v_lshl_or_b32 v13, v11, 12, v6
	s_delay_alu instid0(VALU_DEP_3) | instskip(SKIP_3) | instid1(VALU_DEP_2)
	v_or_b32_e32 v10, v14, v10
	s_wait_alu 0xfffd
	v_cndmask_b32_e64 v8, 0, 1, vcc_lo
	v_cmp_gt_i32_e32 vcc_lo, 1, v9
	v_or_b32_e32 v8, v15, v8
	s_wait_alu 0xfffd
	v_cndmask_b32_e32 v10, v12, v10, vcc_lo
	v_cmp_gt_i32_e32 vcc_lo, 1, v11
	s_delay_alu instid0(VALU_DEP_2)
	v_and_b32_e32 v12, 7, v10
	s_wait_alu 0xfffd
	v_cndmask_b32_e32 v8, v13, v8, vcc_lo
	v_cmp_ne_u32_e32 vcc_lo, 0, v4
	v_lshrrev_b32_e32 v10, 2, v10
	v_cmp_eq_u32_e64 s0, 3, v12
	s_delay_alu instid0(VALU_DEP_4)
	v_and_b32_e32 v13, 7, v8
	s_wait_alu 0xfffd
	v_cndmask_b32_e64 v4, 0, 1, vcc_lo
	v_cmp_ne_u32_e32 vcc_lo, 0, v6
	v_lshrrev_b32_e32 v8, 2, v8
	v_cmp_lt_i32_e64 s1, 5, v13
	v_cmp_eq_u32_e64 s2, 3, v13
	s_wait_alu 0xfffd
	v_cndmask_b32_e64 v6, 0, 1, vcc_lo
	v_cmp_lt_i32_e32 vcc_lo, 5, v12
	v_lshl_or_b32 v4, v4, 9, 0x7c00
	s_delay_alu instid0(VALU_DEP_3)
	v_lshl_or_b32 v6, v6, 9, 0x7c00
	s_or_b32 vcc_lo, s0, vcc_lo
	s_wait_alu 0xfffe
	v_add_co_ci_u32_e32 v10, vcc_lo, 0, v10, vcc_lo
	s_or_b32 vcc_lo, s2, s1
	s_wait_alu 0xfffe
	v_add_co_ci_u32_e32 v8, vcc_lo, 0, v8, vcc_lo
	v_cmp_gt_i32_e32 vcc_lo, 31, v9
	s_wait_alu 0xfffd
	v_cndmask_b32_e32 v10, 0x7c00, v10, vcc_lo
	v_cmp_gt_i32_e32 vcc_lo, 31, v11
	s_wait_alu 0xfffd
	v_cndmask_b32_e32 v8, 0x7c00, v8, vcc_lo
	v_cmp_eq_u32_e32 vcc_lo, 0x40f, v9
	s_wait_alu 0xfffd
	v_cndmask_b32_e32 v4, v10, v4, vcc_lo
	v_cmp_eq_u32_e32 vcc_lo, 0x40f, v11
	s_delay_alu instid0(VALU_DEP_2)
	v_and_or_b32 v4, 0x8000, v5, v4
	s_wait_alu 0xfffd
	v_cndmask_b32_e32 v6, v8, v6, vcc_lo
	v_add_co_u32 v2, vcc_lo, v2, s6
	s_wait_alu 0xfffd
	v_add_co_ci_u32_e32 v3, vcc_lo, s7, v3, vcc_lo
	s_delay_alu instid0(VALU_DEP_3) | instskip(SKIP_1) | instid1(VALU_DEP_1)
	v_and_or_b32 v5, 0x8000, v7, v6
	v_and_b32_e32 v4, 0xffff, v4
	v_lshl_or_b32 v4, v5, 16, v4
	global_store_b32 v[2:3], v4, off
	global_load_b32 v6, v28, s[12:13] offset:220
	ds_load_2addr_b32 v[4:5], v30 offset0:55 offset1:66
	s_wait_dscnt 0x0
	v_lshrrev_b32_e32 v7, 16, v4
	s_wait_loadcnt 0x0
	v_lshrrev_b32_e32 v8, 16, v6
	s_delay_alu instid0(VALU_DEP_1) | instskip(SKIP_1) | instid1(VALU_DEP_2)
	v_mul_f16_e32 v9, v7, v8
	v_mul_f16_e32 v8, v4, v8
	v_fmac_f16_e32 v9, v4, v6
	s_delay_alu instid0(VALU_DEP_2) | instskip(NEXT) | instid1(VALU_DEP_2)
	v_fma_f16 v4, v6, v7, -v8
	v_cvt_f32_f16_e32 v6, v9
	s_delay_alu instid0(VALU_DEP_2) | instskip(NEXT) | instid1(VALU_DEP_2)
	v_cvt_f32_f16_e32 v4, v4
	v_cvt_f64_f32_e32 v[6:7], v6
	s_delay_alu instid0(VALU_DEP_2) | instskip(NEXT) | instid1(VALU_DEP_2)
	v_cvt_f64_f32_e32 v[8:9], v4
	v_mul_f64_e32 v[6:7], s[8:9], v[6:7]
	s_delay_alu instid0(VALU_DEP_2) | instskip(NEXT) | instid1(VALU_DEP_2)
	v_mul_f64_e32 v[8:9], s[8:9], v[8:9]
	v_and_or_b32 v4, 0x1ff, v7, v6
	s_delay_alu instid0(VALU_DEP_2)
	v_and_or_b32 v8, 0x1ff, v9, v8
	v_lshrrev_b32_e32 v6, 8, v7
	v_bfe_u32 v10, v7, 20, 11
	v_lshrrev_b32_e32 v11, 8, v9
	v_cmp_ne_u32_e32 vcc_lo, 0, v4
	v_bfe_u32 v12, v9, 20, 11
	v_lshrrev_b32_e32 v7, 16, v7
	v_sub_nc_u32_e32 v13, 0x3f1, v10
	v_add_nc_u32_e32 v10, 0xfffffc10, v10
	s_wait_alu 0xfffd
	v_cndmask_b32_e64 v4, 0, 1, vcc_lo
	v_cmp_ne_u32_e32 vcc_lo, 0, v8
	v_lshrrev_b32_e32 v9, 16, v9
	s_delay_alu instid0(VALU_DEP_3) | instskip(SKIP_4) | instid1(VALU_DEP_3)
	v_and_or_b32 v4, 0xffe, v6, v4
	s_wait_alu 0xfffd
	v_cndmask_b32_e64 v8, 0, 1, vcc_lo
	v_sub_nc_u32_e32 v6, 0x3f1, v12
	v_add_nc_u32_e32 v12, 0xfffffc10, v12
	v_and_or_b32 v8, 0xffe, v11, v8
	v_med3_i32 v11, v13, 0, 13
	v_or_b32_e32 v13, 0x1000, v4
	v_med3_i32 v6, v6, 0, 13
	s_delay_alu instid0(VALU_DEP_4) | instskip(NEXT) | instid1(VALU_DEP_3)
	v_or_b32_e32 v14, 0x1000, v8
	v_lshrrev_b32_e32 v15, v11, v13
	s_delay_alu instid0(VALU_DEP_2) | instskip(NEXT) | instid1(VALU_DEP_2)
	v_lshrrev_b32_e32 v16, v6, v14
	v_lshlrev_b32_e32 v11, v11, v15
	s_delay_alu instid0(VALU_DEP_2) | instskip(NEXT) | instid1(VALU_DEP_2)
	v_lshlrev_b32_e32 v6, v6, v16
	v_cmp_ne_u32_e32 vcc_lo, v11, v13
	v_lshl_or_b32 v13, v10, 12, v4
	s_wait_alu 0xfffd
	v_cndmask_b32_e64 v11, 0, 1, vcc_lo
	v_cmp_ne_u32_e32 vcc_lo, v6, v14
	v_lshl_or_b32 v14, v12, 12, v8
	s_delay_alu instid0(VALU_DEP_3) | instskip(SKIP_3) | instid1(VALU_DEP_2)
	v_or_b32_e32 v11, v15, v11
	s_wait_alu 0xfffd
	v_cndmask_b32_e64 v6, 0, 1, vcc_lo
	v_cmp_gt_i32_e32 vcc_lo, 1, v10
	v_or_b32_e32 v6, v16, v6
	s_wait_alu 0xfffd
	v_cndmask_b32_e32 v11, v13, v11, vcc_lo
	v_cmp_gt_i32_e32 vcc_lo, 1, v12
	s_wait_alu 0xfffd
	s_delay_alu instid0(VALU_DEP_2) | instskip(SKIP_2) | instid1(VALU_DEP_3)
	v_dual_cndmask_b32 v6, v14, v6 :: v_dual_and_b32 v13, 7, v11
	v_cmp_ne_u32_e32 vcc_lo, 0, v4
	v_lshrrev_b32_e32 v11, 2, v11
	v_cmp_eq_u32_e64 s0, 3, v13
	s_delay_alu instid0(VALU_DEP_4)
	v_and_b32_e32 v14, 7, v6
	s_wait_alu 0xfffd
	v_cndmask_b32_e64 v4, 0, 1, vcc_lo
	v_cmp_ne_u32_e32 vcc_lo, 0, v8
	v_lshrrev_b32_e32 v6, 2, v6
	v_cmp_lt_i32_e64 s1, 5, v14
	v_cmp_eq_u32_e64 s2, 3, v14
	s_wait_alu 0xfffd
	v_cndmask_b32_e64 v8, 0, 1, vcc_lo
	v_cmp_lt_i32_e32 vcc_lo, 5, v13
	v_lshl_or_b32 v4, v4, 9, 0x7c00
	s_delay_alu instid0(VALU_DEP_3)
	v_lshl_or_b32 v8, v8, 9, 0x7c00
	s_or_b32 vcc_lo, s0, vcc_lo
	s_wait_alu 0xfffe
	v_add_co_ci_u32_e32 v11, vcc_lo, 0, v11, vcc_lo
	s_or_b32 vcc_lo, s2, s1
	s_wait_alu 0xfffe
	v_add_co_ci_u32_e32 v6, vcc_lo, 0, v6, vcc_lo
	v_cmp_gt_i32_e32 vcc_lo, 31, v10
	s_wait_alu 0xfffd
	v_cndmask_b32_e32 v11, 0x7c00, v11, vcc_lo
	v_cmp_gt_i32_e32 vcc_lo, 31, v12
	s_wait_alu 0xfffd
	v_cndmask_b32_e32 v6, 0x7c00, v6, vcc_lo
	v_cmp_eq_u32_e32 vcc_lo, 0x40f, v10
	s_wait_alu 0xfffd
	v_cndmask_b32_e32 v4, v11, v4, vcc_lo
	v_cmp_eq_u32_e32 vcc_lo, 0x40f, v12
	s_delay_alu instid0(VALU_DEP_2)
	v_and_or_b32 v4, 0x8000, v7, v4
	s_wait_alu 0xfffd
	v_cndmask_b32_e32 v6, v6, v8, vcc_lo
	v_add_co_u32 v2, vcc_lo, v2, s6
	s_wait_alu 0xfffd
	v_add_co_ci_u32_e32 v3, vcc_lo, s7, v3, vcc_lo
	s_delay_alu instid0(VALU_DEP_3) | instskip(SKIP_1) | instid1(VALU_DEP_1)
	v_and_or_b32 v6, 0x8000, v9, v6
	v_and_b32_e32 v4, 0xffff, v4
	v_lshl_or_b32 v4, v6, 16, v4
	v_lshrrev_b32_e32 v6, 16, v5
	global_store_b32 v[2:3], v4, off
	global_load_b32 v4, v28, s[12:13] offset:264
	s_wait_loadcnt 0x0
	v_lshrrev_b32_e32 v7, 16, v4
	s_delay_alu instid0(VALU_DEP_1) | instskip(SKIP_1) | instid1(VALU_DEP_2)
	v_mul_f16_e32 v8, v6, v7
	v_mul_f16_e32 v7, v5, v7
	v_fmac_f16_e32 v8, v5, v4
	s_delay_alu instid0(VALU_DEP_2) | instskip(NEXT) | instid1(VALU_DEP_2)
	v_fma_f16 v4, v4, v6, -v7
	v_cvt_f32_f16_e32 v5, v8
	s_delay_alu instid0(VALU_DEP_2) | instskip(NEXT) | instid1(VALU_DEP_2)
	v_cvt_f32_f16_e32 v6, v4
	v_cvt_f64_f32_e32 v[4:5], v5
	s_delay_alu instid0(VALU_DEP_2) | instskip(NEXT) | instid1(VALU_DEP_2)
	v_cvt_f64_f32_e32 v[6:7], v6
	v_mul_f64_e32 v[4:5], s[8:9], v[4:5]
	s_delay_alu instid0(VALU_DEP_2) | instskip(NEXT) | instid1(VALU_DEP_2)
	v_mul_f64_e32 v[6:7], s[8:9], v[6:7]
	v_and_or_b32 v4, 0x1ff, v5, v4
	s_delay_alu instid0(VALU_DEP_2)
	v_and_or_b32 v6, 0x1ff, v7, v6
	v_lshrrev_b32_e32 v8, 8, v5
	v_bfe_u32 v9, v5, 20, 11
	v_lshrrev_b32_e32 v10, 8, v7
	v_cmp_ne_u32_e32 vcc_lo, 0, v4
	v_bfe_u32 v11, v7, 20, 11
	v_lshrrev_b32_e32 v5, 16, v5
	v_sub_nc_u32_e32 v12, 0x3f1, v9
	v_add_nc_u32_e32 v9, 0xfffffc10, v9
	s_wait_alu 0xfffd
	v_cndmask_b32_e64 v4, 0, 1, vcc_lo
	v_cmp_ne_u32_e32 vcc_lo, 0, v6
	v_lshrrev_b32_e32 v7, 16, v7
	s_delay_alu instid0(VALU_DEP_3) | instskip(SKIP_4) | instid1(VALU_DEP_3)
	v_and_or_b32 v4, 0xffe, v8, v4
	s_wait_alu 0xfffd
	v_cndmask_b32_e64 v6, 0, 1, vcc_lo
	v_sub_nc_u32_e32 v8, 0x3f1, v11
	v_add_nc_u32_e32 v11, 0xfffffc10, v11
	v_and_or_b32 v6, 0xffe, v10, v6
	v_med3_i32 v10, v12, 0, 13
	v_or_b32_e32 v12, 0x1000, v4
	v_med3_i32 v8, v8, 0, 13
	s_delay_alu instid0(VALU_DEP_4) | instskip(NEXT) | instid1(VALU_DEP_3)
	v_or_b32_e32 v13, 0x1000, v6
	v_lshrrev_b32_e32 v14, v10, v12
	s_delay_alu instid0(VALU_DEP_2) | instskip(NEXT) | instid1(VALU_DEP_2)
	v_lshrrev_b32_e32 v15, v8, v13
	v_lshlrev_b32_e32 v10, v10, v14
	s_delay_alu instid0(VALU_DEP_2) | instskip(NEXT) | instid1(VALU_DEP_2)
	v_lshlrev_b32_e32 v8, v8, v15
	v_cmp_ne_u32_e32 vcc_lo, v10, v12
	v_lshl_or_b32 v12, v9, 12, v4
	s_wait_alu 0xfffd
	v_cndmask_b32_e64 v10, 0, 1, vcc_lo
	v_cmp_ne_u32_e32 vcc_lo, v8, v13
	v_lshl_or_b32 v13, v11, 12, v6
	s_delay_alu instid0(VALU_DEP_3) | instskip(SKIP_3) | instid1(VALU_DEP_2)
	v_or_b32_e32 v10, v14, v10
	s_wait_alu 0xfffd
	v_cndmask_b32_e64 v8, 0, 1, vcc_lo
	v_cmp_gt_i32_e32 vcc_lo, 1, v9
	v_or_b32_e32 v8, v15, v8
	s_wait_alu 0xfffd
	v_cndmask_b32_e32 v10, v12, v10, vcc_lo
	v_cmp_gt_i32_e32 vcc_lo, 1, v11
	s_delay_alu instid0(VALU_DEP_2)
	v_and_b32_e32 v12, 7, v10
	s_wait_alu 0xfffd
	v_cndmask_b32_e32 v8, v13, v8, vcc_lo
	v_cmp_ne_u32_e32 vcc_lo, 0, v4
	v_lshrrev_b32_e32 v10, 2, v10
	v_cmp_eq_u32_e64 s0, 3, v12
	s_delay_alu instid0(VALU_DEP_4)
	v_and_b32_e32 v13, 7, v8
	s_wait_alu 0xfffd
	v_cndmask_b32_e64 v4, 0, 1, vcc_lo
	v_cmp_ne_u32_e32 vcc_lo, 0, v6
	v_lshrrev_b32_e32 v8, 2, v8
	v_cmp_lt_i32_e64 s1, 5, v13
	v_cmp_eq_u32_e64 s2, 3, v13
	s_wait_alu 0xfffd
	v_cndmask_b32_e64 v6, 0, 1, vcc_lo
	v_cmp_lt_i32_e32 vcc_lo, 5, v12
	v_lshl_or_b32 v4, v4, 9, 0x7c00
	s_delay_alu instid0(VALU_DEP_3)
	v_lshl_or_b32 v6, v6, 9, 0x7c00
	s_or_b32 vcc_lo, s0, vcc_lo
	s_wait_alu 0xfffe
	v_add_co_ci_u32_e32 v10, vcc_lo, 0, v10, vcc_lo
	s_or_b32 vcc_lo, s2, s1
	s_wait_alu 0xfffe
	v_add_co_ci_u32_e32 v8, vcc_lo, 0, v8, vcc_lo
	v_cmp_gt_i32_e32 vcc_lo, 31, v9
	s_wait_alu 0xfffd
	v_cndmask_b32_e32 v10, 0x7c00, v10, vcc_lo
	v_cmp_gt_i32_e32 vcc_lo, 31, v11
	s_wait_alu 0xfffd
	v_cndmask_b32_e32 v8, 0x7c00, v8, vcc_lo
	v_cmp_eq_u32_e32 vcc_lo, 0x40f, v9
	s_wait_alu 0xfffd
	v_cndmask_b32_e32 v4, v10, v4, vcc_lo
	v_cmp_eq_u32_e32 vcc_lo, 0x40f, v11
	s_delay_alu instid0(VALU_DEP_2)
	v_and_or_b32 v4, 0x8000, v5, v4
	s_wait_alu 0xfffd
	v_cndmask_b32_e32 v6, v8, v6, vcc_lo
	v_add_co_u32 v2, vcc_lo, v2, s6
	s_wait_alu 0xfffd
	v_add_co_ci_u32_e32 v3, vcc_lo, s7, v3, vcc_lo
	s_delay_alu instid0(VALU_DEP_3) | instskip(SKIP_1) | instid1(VALU_DEP_1)
	v_and_or_b32 v5, 0x8000, v7, v6
	v_and_b32_e32 v4, 0xffff, v4
	v_lshl_or_b32 v4, v5, 16, v4
	global_store_b32 v[2:3], v4, off
	global_load_b32 v6, v28, s[12:13] offset:308
	ds_load_2addr_b32 v[4:5], v30 offset0:77 offset1:88
	s_wait_dscnt 0x0
	v_lshrrev_b32_e32 v7, 16, v4
	s_wait_loadcnt 0x0
	v_lshrrev_b32_e32 v8, 16, v6
	s_delay_alu instid0(VALU_DEP_1) | instskip(SKIP_1) | instid1(VALU_DEP_2)
	v_mul_f16_e32 v9, v7, v8
	v_mul_f16_e32 v8, v4, v8
	v_fmac_f16_e32 v9, v4, v6
	s_delay_alu instid0(VALU_DEP_2) | instskip(NEXT) | instid1(VALU_DEP_2)
	v_fma_f16 v4, v6, v7, -v8
	v_cvt_f32_f16_e32 v6, v9
	s_delay_alu instid0(VALU_DEP_2) | instskip(NEXT) | instid1(VALU_DEP_2)
	v_cvt_f32_f16_e32 v4, v4
	v_cvt_f64_f32_e32 v[6:7], v6
	s_delay_alu instid0(VALU_DEP_2) | instskip(NEXT) | instid1(VALU_DEP_2)
	v_cvt_f64_f32_e32 v[8:9], v4
	v_mul_f64_e32 v[6:7], s[8:9], v[6:7]
	s_delay_alu instid0(VALU_DEP_2) | instskip(NEXT) | instid1(VALU_DEP_2)
	v_mul_f64_e32 v[8:9], s[8:9], v[8:9]
	v_and_or_b32 v4, 0x1ff, v7, v6
	s_delay_alu instid0(VALU_DEP_2)
	v_and_or_b32 v8, 0x1ff, v9, v8
	v_lshrrev_b32_e32 v6, 8, v7
	v_bfe_u32 v10, v7, 20, 11
	v_lshrrev_b32_e32 v11, 8, v9
	v_cmp_ne_u32_e32 vcc_lo, 0, v4
	v_bfe_u32 v12, v9, 20, 11
	v_lshrrev_b32_e32 v7, 16, v7
	v_sub_nc_u32_e32 v13, 0x3f1, v10
	v_add_nc_u32_e32 v10, 0xfffffc10, v10
	s_wait_alu 0xfffd
	v_cndmask_b32_e64 v4, 0, 1, vcc_lo
	v_cmp_ne_u32_e32 vcc_lo, 0, v8
	v_lshrrev_b32_e32 v9, 16, v9
	s_delay_alu instid0(VALU_DEP_3) | instskip(SKIP_4) | instid1(VALU_DEP_3)
	v_and_or_b32 v4, 0xffe, v6, v4
	s_wait_alu 0xfffd
	v_cndmask_b32_e64 v8, 0, 1, vcc_lo
	v_sub_nc_u32_e32 v6, 0x3f1, v12
	v_add_nc_u32_e32 v12, 0xfffffc10, v12
	v_and_or_b32 v8, 0xffe, v11, v8
	v_med3_i32 v11, v13, 0, 13
	v_or_b32_e32 v13, 0x1000, v4
	v_med3_i32 v6, v6, 0, 13
	s_delay_alu instid0(VALU_DEP_4) | instskip(NEXT) | instid1(VALU_DEP_3)
	v_or_b32_e32 v14, 0x1000, v8
	v_lshrrev_b32_e32 v15, v11, v13
	s_delay_alu instid0(VALU_DEP_2) | instskip(NEXT) | instid1(VALU_DEP_2)
	v_lshrrev_b32_e32 v16, v6, v14
	v_lshlrev_b32_e32 v11, v11, v15
	s_delay_alu instid0(VALU_DEP_2) | instskip(NEXT) | instid1(VALU_DEP_2)
	v_lshlrev_b32_e32 v6, v6, v16
	v_cmp_ne_u32_e32 vcc_lo, v11, v13
	v_lshl_or_b32 v13, v10, 12, v4
	s_wait_alu 0xfffd
	v_cndmask_b32_e64 v11, 0, 1, vcc_lo
	v_cmp_ne_u32_e32 vcc_lo, v6, v14
	v_lshl_or_b32 v14, v12, 12, v8
	s_delay_alu instid0(VALU_DEP_3) | instskip(SKIP_3) | instid1(VALU_DEP_2)
	v_or_b32_e32 v11, v15, v11
	s_wait_alu 0xfffd
	v_cndmask_b32_e64 v6, 0, 1, vcc_lo
	v_cmp_gt_i32_e32 vcc_lo, 1, v10
	v_or_b32_e32 v6, v16, v6
	s_wait_alu 0xfffd
	v_cndmask_b32_e32 v11, v13, v11, vcc_lo
	v_cmp_gt_i32_e32 vcc_lo, 1, v12
	s_wait_alu 0xfffd
	s_delay_alu instid0(VALU_DEP_2) | instskip(SKIP_2) | instid1(VALU_DEP_3)
	v_dual_cndmask_b32 v6, v14, v6 :: v_dual_and_b32 v13, 7, v11
	v_cmp_ne_u32_e32 vcc_lo, 0, v4
	v_lshrrev_b32_e32 v11, 2, v11
	v_cmp_eq_u32_e64 s0, 3, v13
	s_delay_alu instid0(VALU_DEP_4)
	v_and_b32_e32 v14, 7, v6
	s_wait_alu 0xfffd
	v_cndmask_b32_e64 v4, 0, 1, vcc_lo
	v_cmp_ne_u32_e32 vcc_lo, 0, v8
	v_lshrrev_b32_e32 v6, 2, v6
	v_cmp_lt_i32_e64 s1, 5, v14
	v_cmp_eq_u32_e64 s2, 3, v14
	s_wait_alu 0xfffd
	v_cndmask_b32_e64 v8, 0, 1, vcc_lo
	v_cmp_lt_i32_e32 vcc_lo, 5, v13
	v_lshl_or_b32 v4, v4, 9, 0x7c00
	s_delay_alu instid0(VALU_DEP_3)
	v_lshl_or_b32 v8, v8, 9, 0x7c00
	s_or_b32 vcc_lo, s0, vcc_lo
	s_wait_alu 0xfffe
	v_add_co_ci_u32_e32 v11, vcc_lo, 0, v11, vcc_lo
	s_or_b32 vcc_lo, s2, s1
	s_wait_alu 0xfffe
	v_add_co_ci_u32_e32 v6, vcc_lo, 0, v6, vcc_lo
	v_cmp_gt_i32_e32 vcc_lo, 31, v10
	s_wait_alu 0xfffd
	v_cndmask_b32_e32 v11, 0x7c00, v11, vcc_lo
	v_cmp_gt_i32_e32 vcc_lo, 31, v12
	s_wait_alu 0xfffd
	v_cndmask_b32_e32 v6, 0x7c00, v6, vcc_lo
	v_cmp_eq_u32_e32 vcc_lo, 0x40f, v10
	s_wait_alu 0xfffd
	v_cndmask_b32_e32 v4, v11, v4, vcc_lo
	v_cmp_eq_u32_e32 vcc_lo, 0x40f, v12
	s_delay_alu instid0(VALU_DEP_2)
	v_and_or_b32 v4, 0x8000, v7, v4
	s_wait_alu 0xfffd
	v_cndmask_b32_e32 v6, v6, v8, vcc_lo
	v_add_co_u32 v2, vcc_lo, v2, s6
	s_wait_alu 0xfffd
	v_add_co_ci_u32_e32 v3, vcc_lo, s7, v3, vcc_lo
	s_delay_alu instid0(VALU_DEP_3) | instskip(SKIP_1) | instid1(VALU_DEP_1)
	v_and_or_b32 v6, 0x8000, v9, v6
	v_and_b32_e32 v4, 0xffff, v4
	v_lshl_or_b32 v4, v6, 16, v4
	v_lshrrev_b32_e32 v6, 16, v5
	global_store_b32 v[2:3], v4, off
	global_load_b32 v4, v28, s[12:13] offset:352
	s_wait_loadcnt 0x0
	v_lshrrev_b32_e32 v7, 16, v4
	s_delay_alu instid0(VALU_DEP_1) | instskip(SKIP_1) | instid1(VALU_DEP_2)
	v_mul_f16_e32 v8, v6, v7
	v_mul_f16_e32 v7, v5, v7
	v_fmac_f16_e32 v8, v5, v4
	s_delay_alu instid0(VALU_DEP_2) | instskip(NEXT) | instid1(VALU_DEP_2)
	v_fma_f16 v4, v4, v6, -v7
	v_cvt_f32_f16_e32 v5, v8
	s_delay_alu instid0(VALU_DEP_2) | instskip(NEXT) | instid1(VALU_DEP_2)
	v_cvt_f32_f16_e32 v6, v4
	v_cvt_f64_f32_e32 v[4:5], v5
	s_delay_alu instid0(VALU_DEP_2) | instskip(NEXT) | instid1(VALU_DEP_2)
	v_cvt_f64_f32_e32 v[6:7], v6
	v_mul_f64_e32 v[4:5], s[8:9], v[4:5]
	s_delay_alu instid0(VALU_DEP_2) | instskip(NEXT) | instid1(VALU_DEP_2)
	v_mul_f64_e32 v[6:7], s[8:9], v[6:7]
	v_and_or_b32 v4, 0x1ff, v5, v4
	s_delay_alu instid0(VALU_DEP_2)
	v_and_or_b32 v6, 0x1ff, v7, v6
	v_lshrrev_b32_e32 v8, 8, v5
	v_bfe_u32 v9, v5, 20, 11
	v_lshrrev_b32_e32 v10, 8, v7
	v_cmp_ne_u32_e32 vcc_lo, 0, v4
	v_bfe_u32 v11, v7, 20, 11
	v_lshrrev_b32_e32 v5, 16, v5
	v_sub_nc_u32_e32 v12, 0x3f1, v9
	v_add_nc_u32_e32 v9, 0xfffffc10, v9
	s_wait_alu 0xfffd
	v_cndmask_b32_e64 v4, 0, 1, vcc_lo
	v_cmp_ne_u32_e32 vcc_lo, 0, v6
	v_lshrrev_b32_e32 v7, 16, v7
	s_delay_alu instid0(VALU_DEP_3) | instskip(SKIP_4) | instid1(VALU_DEP_3)
	v_and_or_b32 v4, 0xffe, v8, v4
	s_wait_alu 0xfffd
	v_cndmask_b32_e64 v6, 0, 1, vcc_lo
	v_sub_nc_u32_e32 v8, 0x3f1, v11
	v_add_nc_u32_e32 v11, 0xfffffc10, v11
	v_and_or_b32 v6, 0xffe, v10, v6
	v_med3_i32 v10, v12, 0, 13
	v_or_b32_e32 v12, 0x1000, v4
	v_med3_i32 v8, v8, 0, 13
	s_delay_alu instid0(VALU_DEP_4) | instskip(NEXT) | instid1(VALU_DEP_3)
	v_or_b32_e32 v13, 0x1000, v6
	v_lshrrev_b32_e32 v14, v10, v12
	s_delay_alu instid0(VALU_DEP_2) | instskip(NEXT) | instid1(VALU_DEP_2)
	v_lshrrev_b32_e32 v15, v8, v13
	v_lshlrev_b32_e32 v10, v10, v14
	s_delay_alu instid0(VALU_DEP_2) | instskip(NEXT) | instid1(VALU_DEP_2)
	v_lshlrev_b32_e32 v8, v8, v15
	v_cmp_ne_u32_e32 vcc_lo, v10, v12
	v_lshl_or_b32 v12, v9, 12, v4
	s_wait_alu 0xfffd
	v_cndmask_b32_e64 v10, 0, 1, vcc_lo
	v_cmp_ne_u32_e32 vcc_lo, v8, v13
	v_lshl_or_b32 v13, v11, 12, v6
	s_delay_alu instid0(VALU_DEP_3) | instskip(SKIP_3) | instid1(VALU_DEP_2)
	v_or_b32_e32 v10, v14, v10
	s_wait_alu 0xfffd
	v_cndmask_b32_e64 v8, 0, 1, vcc_lo
	v_cmp_gt_i32_e32 vcc_lo, 1, v9
	v_or_b32_e32 v8, v15, v8
	s_wait_alu 0xfffd
	v_cndmask_b32_e32 v10, v12, v10, vcc_lo
	v_cmp_gt_i32_e32 vcc_lo, 1, v11
	s_delay_alu instid0(VALU_DEP_2)
	v_and_b32_e32 v12, 7, v10
	s_wait_alu 0xfffd
	v_cndmask_b32_e32 v8, v13, v8, vcc_lo
	v_cmp_ne_u32_e32 vcc_lo, 0, v4
	v_lshrrev_b32_e32 v10, 2, v10
	v_cmp_eq_u32_e64 s0, 3, v12
	s_delay_alu instid0(VALU_DEP_4)
	v_and_b32_e32 v13, 7, v8
	s_wait_alu 0xfffd
	v_cndmask_b32_e64 v4, 0, 1, vcc_lo
	v_cmp_ne_u32_e32 vcc_lo, 0, v6
	v_lshrrev_b32_e32 v8, 2, v8
	v_cmp_lt_i32_e64 s1, 5, v13
	v_cmp_eq_u32_e64 s2, 3, v13
	s_wait_alu 0xfffd
	v_cndmask_b32_e64 v6, 0, 1, vcc_lo
	v_cmp_lt_i32_e32 vcc_lo, 5, v12
	v_lshl_or_b32 v4, v4, 9, 0x7c00
	s_delay_alu instid0(VALU_DEP_3)
	v_lshl_or_b32 v6, v6, 9, 0x7c00
	s_or_b32 vcc_lo, s0, vcc_lo
	s_wait_alu 0xfffe
	v_add_co_ci_u32_e32 v10, vcc_lo, 0, v10, vcc_lo
	s_or_b32 vcc_lo, s2, s1
	s_wait_alu 0xfffe
	v_add_co_ci_u32_e32 v8, vcc_lo, 0, v8, vcc_lo
	v_cmp_gt_i32_e32 vcc_lo, 31, v9
	s_wait_alu 0xfffd
	v_cndmask_b32_e32 v10, 0x7c00, v10, vcc_lo
	v_cmp_gt_i32_e32 vcc_lo, 31, v11
	s_wait_alu 0xfffd
	v_cndmask_b32_e32 v8, 0x7c00, v8, vcc_lo
	v_cmp_eq_u32_e32 vcc_lo, 0x40f, v9
	s_wait_alu 0xfffd
	v_cndmask_b32_e32 v4, v10, v4, vcc_lo
	v_cmp_eq_u32_e32 vcc_lo, 0x40f, v11
	s_delay_alu instid0(VALU_DEP_2)
	v_and_or_b32 v4, 0x8000, v5, v4
	s_wait_alu 0xfffd
	v_cndmask_b32_e32 v6, v8, v6, vcc_lo
	v_add_co_u32 v2, vcc_lo, v2, s6
	s_wait_alu 0xfffd
	v_add_co_ci_u32_e32 v3, vcc_lo, s7, v3, vcc_lo
	s_delay_alu instid0(VALU_DEP_3) | instskip(SKIP_1) | instid1(VALU_DEP_1)
	v_and_or_b32 v5, 0x8000, v7, v6
	v_and_b32_e32 v4, 0xffff, v4
	v_lshl_or_b32 v4, v5, 16, v4
	global_store_b32 v[2:3], v4, off
	global_load_b32 v6, v28, s[12:13] offset:396
	ds_load_2addr_b32 v[4:5], v30 offset0:99 offset1:110
	s_wait_dscnt 0x0
	v_lshrrev_b32_e32 v7, 16, v4
	s_wait_loadcnt 0x0
	v_lshrrev_b32_e32 v8, 16, v6
	s_delay_alu instid0(VALU_DEP_1) | instskip(SKIP_1) | instid1(VALU_DEP_2)
	v_mul_f16_e32 v9, v7, v8
	v_mul_f16_e32 v8, v4, v8
	v_fmac_f16_e32 v9, v4, v6
	s_delay_alu instid0(VALU_DEP_2) | instskip(NEXT) | instid1(VALU_DEP_2)
	v_fma_f16 v4, v6, v7, -v8
	v_cvt_f32_f16_e32 v6, v9
	s_delay_alu instid0(VALU_DEP_2) | instskip(NEXT) | instid1(VALU_DEP_2)
	v_cvt_f32_f16_e32 v4, v4
	v_cvt_f64_f32_e32 v[6:7], v6
	s_delay_alu instid0(VALU_DEP_2) | instskip(NEXT) | instid1(VALU_DEP_2)
	v_cvt_f64_f32_e32 v[8:9], v4
	v_mul_f64_e32 v[6:7], s[8:9], v[6:7]
	s_delay_alu instid0(VALU_DEP_2) | instskip(NEXT) | instid1(VALU_DEP_2)
	v_mul_f64_e32 v[8:9], s[8:9], v[8:9]
	v_and_or_b32 v4, 0x1ff, v7, v6
	s_delay_alu instid0(VALU_DEP_2)
	v_and_or_b32 v8, 0x1ff, v9, v8
	v_lshrrev_b32_e32 v6, 8, v7
	v_bfe_u32 v10, v7, 20, 11
	v_lshrrev_b32_e32 v11, 8, v9
	v_cmp_ne_u32_e32 vcc_lo, 0, v4
	v_bfe_u32 v12, v9, 20, 11
	v_lshrrev_b32_e32 v7, 16, v7
	v_sub_nc_u32_e32 v13, 0x3f1, v10
	v_add_nc_u32_e32 v10, 0xfffffc10, v10
	s_wait_alu 0xfffd
	v_cndmask_b32_e64 v4, 0, 1, vcc_lo
	v_cmp_ne_u32_e32 vcc_lo, 0, v8
	v_lshrrev_b32_e32 v9, 16, v9
	s_delay_alu instid0(VALU_DEP_3) | instskip(SKIP_4) | instid1(VALU_DEP_3)
	v_and_or_b32 v4, 0xffe, v6, v4
	s_wait_alu 0xfffd
	v_cndmask_b32_e64 v8, 0, 1, vcc_lo
	v_sub_nc_u32_e32 v6, 0x3f1, v12
	v_add_nc_u32_e32 v12, 0xfffffc10, v12
	v_and_or_b32 v8, 0xffe, v11, v8
	v_med3_i32 v11, v13, 0, 13
	v_or_b32_e32 v13, 0x1000, v4
	v_med3_i32 v6, v6, 0, 13
	s_delay_alu instid0(VALU_DEP_4) | instskip(NEXT) | instid1(VALU_DEP_3)
	v_or_b32_e32 v14, 0x1000, v8
	v_lshrrev_b32_e32 v15, v11, v13
	s_delay_alu instid0(VALU_DEP_2) | instskip(NEXT) | instid1(VALU_DEP_2)
	v_lshrrev_b32_e32 v16, v6, v14
	v_lshlrev_b32_e32 v11, v11, v15
	s_delay_alu instid0(VALU_DEP_2) | instskip(NEXT) | instid1(VALU_DEP_2)
	v_lshlrev_b32_e32 v6, v6, v16
	v_cmp_ne_u32_e32 vcc_lo, v11, v13
	v_lshl_or_b32 v13, v10, 12, v4
	s_wait_alu 0xfffd
	v_cndmask_b32_e64 v11, 0, 1, vcc_lo
	v_cmp_ne_u32_e32 vcc_lo, v6, v14
	v_lshl_or_b32 v14, v12, 12, v8
	s_delay_alu instid0(VALU_DEP_3) | instskip(SKIP_3) | instid1(VALU_DEP_2)
	v_or_b32_e32 v11, v15, v11
	s_wait_alu 0xfffd
	v_cndmask_b32_e64 v6, 0, 1, vcc_lo
	v_cmp_gt_i32_e32 vcc_lo, 1, v10
	v_or_b32_e32 v6, v16, v6
	s_wait_alu 0xfffd
	v_cndmask_b32_e32 v11, v13, v11, vcc_lo
	v_cmp_gt_i32_e32 vcc_lo, 1, v12
	s_wait_alu 0xfffd
	s_delay_alu instid0(VALU_DEP_2) | instskip(SKIP_2) | instid1(VALU_DEP_3)
	v_dual_cndmask_b32 v6, v14, v6 :: v_dual_and_b32 v13, 7, v11
	v_cmp_ne_u32_e32 vcc_lo, 0, v4
	v_lshrrev_b32_e32 v11, 2, v11
	v_cmp_eq_u32_e64 s0, 3, v13
	s_delay_alu instid0(VALU_DEP_4)
	v_and_b32_e32 v14, 7, v6
	s_wait_alu 0xfffd
	v_cndmask_b32_e64 v4, 0, 1, vcc_lo
	v_cmp_ne_u32_e32 vcc_lo, 0, v8
	v_lshrrev_b32_e32 v6, 2, v6
	v_cmp_lt_i32_e64 s1, 5, v14
	v_cmp_eq_u32_e64 s2, 3, v14
	s_wait_alu 0xfffd
	v_cndmask_b32_e64 v8, 0, 1, vcc_lo
	v_cmp_lt_i32_e32 vcc_lo, 5, v13
	v_lshl_or_b32 v4, v4, 9, 0x7c00
	s_delay_alu instid0(VALU_DEP_3)
	v_lshl_or_b32 v8, v8, 9, 0x7c00
	s_or_b32 vcc_lo, s0, vcc_lo
	s_wait_alu 0xfffe
	v_add_co_ci_u32_e32 v11, vcc_lo, 0, v11, vcc_lo
	s_or_b32 vcc_lo, s2, s1
	s_wait_alu 0xfffe
	v_add_co_ci_u32_e32 v6, vcc_lo, 0, v6, vcc_lo
	v_cmp_gt_i32_e32 vcc_lo, 31, v10
	s_wait_alu 0xfffd
	v_cndmask_b32_e32 v11, 0x7c00, v11, vcc_lo
	v_cmp_gt_i32_e32 vcc_lo, 31, v12
	s_wait_alu 0xfffd
	v_cndmask_b32_e32 v6, 0x7c00, v6, vcc_lo
	v_cmp_eq_u32_e32 vcc_lo, 0x40f, v10
	s_wait_alu 0xfffd
	v_cndmask_b32_e32 v4, v11, v4, vcc_lo
	v_cmp_eq_u32_e32 vcc_lo, 0x40f, v12
	s_delay_alu instid0(VALU_DEP_2)
	v_and_or_b32 v4, 0x8000, v7, v4
	s_wait_alu 0xfffd
	v_cndmask_b32_e32 v6, v6, v8, vcc_lo
	v_add_co_u32 v2, vcc_lo, v2, s6
	s_wait_alu 0xfffd
	v_add_co_ci_u32_e32 v3, vcc_lo, s7, v3, vcc_lo
	s_delay_alu instid0(VALU_DEP_3) | instskip(SKIP_1) | instid1(VALU_DEP_1)
	v_and_or_b32 v6, 0x8000, v9, v6
	v_and_b32_e32 v4, 0xffff, v4
	v_lshl_or_b32 v4, v6, 16, v4
	v_lshrrev_b32_e32 v6, 16, v5
	global_store_b32 v[2:3], v4, off
	global_load_b32 v4, v28, s[12:13] offset:440
	s_wait_loadcnt 0x0
	v_lshrrev_b32_e32 v7, 16, v4
	s_delay_alu instid0(VALU_DEP_1) | instskip(SKIP_1) | instid1(VALU_DEP_2)
	v_mul_f16_e32 v8, v6, v7
	v_mul_f16_e32 v7, v5, v7
	v_fmac_f16_e32 v8, v5, v4
	s_delay_alu instid0(VALU_DEP_2) | instskip(NEXT) | instid1(VALU_DEP_2)
	v_fma_f16 v4, v4, v6, -v7
	v_cvt_f32_f16_e32 v5, v8
	s_delay_alu instid0(VALU_DEP_2) | instskip(NEXT) | instid1(VALU_DEP_2)
	v_cvt_f32_f16_e32 v6, v4
	v_cvt_f64_f32_e32 v[4:5], v5
	s_delay_alu instid0(VALU_DEP_2) | instskip(NEXT) | instid1(VALU_DEP_2)
	v_cvt_f64_f32_e32 v[6:7], v6
	v_mul_f64_e32 v[4:5], s[8:9], v[4:5]
	s_delay_alu instid0(VALU_DEP_2) | instskip(NEXT) | instid1(VALU_DEP_2)
	v_mul_f64_e32 v[6:7], s[8:9], v[6:7]
	v_and_or_b32 v4, 0x1ff, v5, v4
	s_delay_alu instid0(VALU_DEP_2)
	v_and_or_b32 v6, 0x1ff, v7, v6
	v_lshrrev_b32_e32 v8, 8, v5
	v_bfe_u32 v9, v5, 20, 11
	v_lshrrev_b32_e32 v10, 8, v7
	v_cmp_ne_u32_e32 vcc_lo, 0, v4
	v_bfe_u32 v11, v7, 20, 11
	v_lshrrev_b32_e32 v5, 16, v5
	v_sub_nc_u32_e32 v12, 0x3f1, v9
	v_add_nc_u32_e32 v9, 0xfffffc10, v9
	s_wait_alu 0xfffd
	v_cndmask_b32_e64 v4, 0, 1, vcc_lo
	v_cmp_ne_u32_e32 vcc_lo, 0, v6
	v_lshrrev_b32_e32 v7, 16, v7
	s_delay_alu instid0(VALU_DEP_3) | instskip(SKIP_4) | instid1(VALU_DEP_3)
	v_and_or_b32 v4, 0xffe, v8, v4
	s_wait_alu 0xfffd
	v_cndmask_b32_e64 v6, 0, 1, vcc_lo
	v_sub_nc_u32_e32 v8, 0x3f1, v11
	v_add_nc_u32_e32 v11, 0xfffffc10, v11
	v_and_or_b32 v6, 0xffe, v10, v6
	v_med3_i32 v10, v12, 0, 13
	v_or_b32_e32 v12, 0x1000, v4
	v_med3_i32 v8, v8, 0, 13
	s_delay_alu instid0(VALU_DEP_4) | instskip(NEXT) | instid1(VALU_DEP_3)
	v_or_b32_e32 v13, 0x1000, v6
	v_lshrrev_b32_e32 v14, v10, v12
	s_delay_alu instid0(VALU_DEP_2) | instskip(NEXT) | instid1(VALU_DEP_2)
	v_lshrrev_b32_e32 v15, v8, v13
	v_lshlrev_b32_e32 v10, v10, v14
	s_delay_alu instid0(VALU_DEP_2) | instskip(NEXT) | instid1(VALU_DEP_2)
	v_lshlrev_b32_e32 v8, v8, v15
	v_cmp_ne_u32_e32 vcc_lo, v10, v12
	v_lshl_or_b32 v12, v9, 12, v4
	s_wait_alu 0xfffd
	v_cndmask_b32_e64 v10, 0, 1, vcc_lo
	v_cmp_ne_u32_e32 vcc_lo, v8, v13
	v_lshl_or_b32 v13, v11, 12, v6
	s_delay_alu instid0(VALU_DEP_3) | instskip(SKIP_3) | instid1(VALU_DEP_2)
	v_or_b32_e32 v10, v14, v10
	s_wait_alu 0xfffd
	v_cndmask_b32_e64 v8, 0, 1, vcc_lo
	v_cmp_gt_i32_e32 vcc_lo, 1, v9
	v_or_b32_e32 v8, v15, v8
	s_wait_alu 0xfffd
	v_cndmask_b32_e32 v10, v12, v10, vcc_lo
	v_cmp_gt_i32_e32 vcc_lo, 1, v11
	s_delay_alu instid0(VALU_DEP_2)
	v_and_b32_e32 v12, 7, v10
	s_wait_alu 0xfffd
	v_cndmask_b32_e32 v8, v13, v8, vcc_lo
	v_cmp_ne_u32_e32 vcc_lo, 0, v4
	v_lshrrev_b32_e32 v10, 2, v10
	v_cmp_eq_u32_e64 s0, 3, v12
	s_delay_alu instid0(VALU_DEP_4)
	v_and_b32_e32 v13, 7, v8
	s_wait_alu 0xfffd
	v_cndmask_b32_e64 v4, 0, 1, vcc_lo
	v_cmp_ne_u32_e32 vcc_lo, 0, v6
	v_lshrrev_b32_e32 v8, 2, v8
	v_cmp_lt_i32_e64 s1, 5, v13
	v_cmp_eq_u32_e64 s2, 3, v13
	s_wait_alu 0xfffd
	v_cndmask_b32_e64 v6, 0, 1, vcc_lo
	v_cmp_lt_i32_e32 vcc_lo, 5, v12
	v_lshl_or_b32 v4, v4, 9, 0x7c00
	s_delay_alu instid0(VALU_DEP_3)
	v_lshl_or_b32 v6, v6, 9, 0x7c00
	s_or_b32 vcc_lo, s0, vcc_lo
	s_wait_alu 0xfffe
	v_add_co_ci_u32_e32 v10, vcc_lo, 0, v10, vcc_lo
	s_or_b32 vcc_lo, s2, s1
	s_wait_alu 0xfffe
	v_add_co_ci_u32_e32 v8, vcc_lo, 0, v8, vcc_lo
	v_cmp_gt_i32_e32 vcc_lo, 31, v9
	s_wait_alu 0xfffd
	v_cndmask_b32_e32 v10, 0x7c00, v10, vcc_lo
	v_cmp_gt_i32_e32 vcc_lo, 31, v11
	s_wait_alu 0xfffd
	v_cndmask_b32_e32 v8, 0x7c00, v8, vcc_lo
	v_cmp_eq_u32_e32 vcc_lo, 0x40f, v9
	s_wait_alu 0xfffd
	v_cndmask_b32_e32 v4, v10, v4, vcc_lo
	v_cmp_eq_u32_e32 vcc_lo, 0x40f, v11
	s_delay_alu instid0(VALU_DEP_2)
	v_and_or_b32 v4, 0x8000, v5, v4
	s_wait_alu 0xfffd
	v_cndmask_b32_e32 v6, v8, v6, vcc_lo
	v_add_co_u32 v2, vcc_lo, v2, s6
	s_wait_alu 0xfffd
	v_add_co_ci_u32_e32 v3, vcc_lo, s7, v3, vcc_lo
	s_delay_alu instid0(VALU_DEP_3) | instskip(SKIP_1) | instid1(VALU_DEP_1)
	v_and_or_b32 v5, 0x8000, v7, v6
	v_and_b32_e32 v4, 0xffff, v4
	v_lshl_or_b32 v4, v5, 16, v4
	global_store_b32 v[2:3], v4, off
	global_load_b32 v6, v28, s[12:13] offset:484
	ds_load_2addr_b32 v[4:5], v30 offset0:121 offset1:132
	s_wait_dscnt 0x0
	v_lshrrev_b32_e32 v7, 16, v4
	s_wait_loadcnt 0x0
	v_lshrrev_b32_e32 v8, 16, v6
	s_delay_alu instid0(VALU_DEP_1) | instskip(SKIP_1) | instid1(VALU_DEP_2)
	v_mul_f16_e32 v9, v7, v8
	v_mul_f16_e32 v8, v4, v8
	v_fmac_f16_e32 v9, v4, v6
	s_delay_alu instid0(VALU_DEP_2) | instskip(NEXT) | instid1(VALU_DEP_2)
	v_fma_f16 v4, v6, v7, -v8
	v_cvt_f32_f16_e32 v6, v9
	s_delay_alu instid0(VALU_DEP_2) | instskip(NEXT) | instid1(VALU_DEP_2)
	v_cvt_f32_f16_e32 v4, v4
	v_cvt_f64_f32_e32 v[6:7], v6
	s_delay_alu instid0(VALU_DEP_2) | instskip(NEXT) | instid1(VALU_DEP_2)
	v_cvt_f64_f32_e32 v[8:9], v4
	v_mul_f64_e32 v[6:7], s[8:9], v[6:7]
	s_delay_alu instid0(VALU_DEP_2) | instskip(NEXT) | instid1(VALU_DEP_2)
	v_mul_f64_e32 v[8:9], s[8:9], v[8:9]
	v_and_or_b32 v4, 0x1ff, v7, v6
	s_delay_alu instid0(VALU_DEP_2)
	v_and_or_b32 v8, 0x1ff, v9, v8
	v_lshrrev_b32_e32 v6, 8, v7
	v_bfe_u32 v10, v7, 20, 11
	v_lshrrev_b32_e32 v11, 8, v9
	v_cmp_ne_u32_e32 vcc_lo, 0, v4
	v_bfe_u32 v12, v9, 20, 11
	v_lshrrev_b32_e32 v7, 16, v7
	v_sub_nc_u32_e32 v13, 0x3f1, v10
	v_add_nc_u32_e32 v10, 0xfffffc10, v10
	s_wait_alu 0xfffd
	v_cndmask_b32_e64 v4, 0, 1, vcc_lo
	v_cmp_ne_u32_e32 vcc_lo, 0, v8
	v_lshrrev_b32_e32 v9, 16, v9
	s_delay_alu instid0(VALU_DEP_3) | instskip(SKIP_4) | instid1(VALU_DEP_3)
	v_and_or_b32 v4, 0xffe, v6, v4
	s_wait_alu 0xfffd
	v_cndmask_b32_e64 v8, 0, 1, vcc_lo
	v_sub_nc_u32_e32 v6, 0x3f1, v12
	v_add_nc_u32_e32 v12, 0xfffffc10, v12
	v_and_or_b32 v8, 0xffe, v11, v8
	v_med3_i32 v11, v13, 0, 13
	v_or_b32_e32 v13, 0x1000, v4
	v_med3_i32 v6, v6, 0, 13
	s_delay_alu instid0(VALU_DEP_4) | instskip(NEXT) | instid1(VALU_DEP_3)
	v_or_b32_e32 v14, 0x1000, v8
	v_lshrrev_b32_e32 v15, v11, v13
	s_delay_alu instid0(VALU_DEP_2) | instskip(NEXT) | instid1(VALU_DEP_2)
	v_lshrrev_b32_e32 v16, v6, v14
	v_lshlrev_b32_e32 v11, v11, v15
	s_delay_alu instid0(VALU_DEP_2) | instskip(NEXT) | instid1(VALU_DEP_2)
	v_lshlrev_b32_e32 v6, v6, v16
	v_cmp_ne_u32_e32 vcc_lo, v11, v13
	v_lshl_or_b32 v13, v10, 12, v4
	s_wait_alu 0xfffd
	v_cndmask_b32_e64 v11, 0, 1, vcc_lo
	v_cmp_ne_u32_e32 vcc_lo, v6, v14
	v_lshl_or_b32 v14, v12, 12, v8
	s_delay_alu instid0(VALU_DEP_3) | instskip(SKIP_3) | instid1(VALU_DEP_2)
	v_or_b32_e32 v11, v15, v11
	s_wait_alu 0xfffd
	v_cndmask_b32_e64 v6, 0, 1, vcc_lo
	v_cmp_gt_i32_e32 vcc_lo, 1, v10
	v_or_b32_e32 v6, v16, v6
	s_wait_alu 0xfffd
	v_cndmask_b32_e32 v11, v13, v11, vcc_lo
	v_cmp_gt_i32_e32 vcc_lo, 1, v12
	s_wait_alu 0xfffd
	s_delay_alu instid0(VALU_DEP_2) | instskip(SKIP_2) | instid1(VALU_DEP_3)
	v_dual_cndmask_b32 v6, v14, v6 :: v_dual_and_b32 v13, 7, v11
	v_cmp_ne_u32_e32 vcc_lo, 0, v4
	v_lshrrev_b32_e32 v11, 2, v11
	v_cmp_eq_u32_e64 s0, 3, v13
	s_delay_alu instid0(VALU_DEP_4)
	v_and_b32_e32 v14, 7, v6
	s_wait_alu 0xfffd
	v_cndmask_b32_e64 v4, 0, 1, vcc_lo
	v_cmp_ne_u32_e32 vcc_lo, 0, v8
	v_lshrrev_b32_e32 v6, 2, v6
	v_cmp_lt_i32_e64 s1, 5, v14
	v_cmp_eq_u32_e64 s2, 3, v14
	s_wait_alu 0xfffd
	v_cndmask_b32_e64 v8, 0, 1, vcc_lo
	v_cmp_lt_i32_e32 vcc_lo, 5, v13
	v_lshl_or_b32 v4, v4, 9, 0x7c00
	s_delay_alu instid0(VALU_DEP_3)
	v_lshl_or_b32 v8, v8, 9, 0x7c00
	s_or_b32 vcc_lo, s0, vcc_lo
	s_wait_alu 0xfffe
	v_add_co_ci_u32_e32 v11, vcc_lo, 0, v11, vcc_lo
	s_or_b32 vcc_lo, s2, s1
	s_wait_alu 0xfffe
	v_add_co_ci_u32_e32 v6, vcc_lo, 0, v6, vcc_lo
	v_cmp_gt_i32_e32 vcc_lo, 31, v10
	s_wait_alu 0xfffd
	v_cndmask_b32_e32 v11, 0x7c00, v11, vcc_lo
	v_cmp_gt_i32_e32 vcc_lo, 31, v12
	s_wait_alu 0xfffd
	v_cndmask_b32_e32 v6, 0x7c00, v6, vcc_lo
	v_cmp_eq_u32_e32 vcc_lo, 0x40f, v10
	s_wait_alu 0xfffd
	v_cndmask_b32_e32 v4, v11, v4, vcc_lo
	v_cmp_eq_u32_e32 vcc_lo, 0x40f, v12
	s_delay_alu instid0(VALU_DEP_2)
	v_and_or_b32 v4, 0x8000, v7, v4
	s_wait_alu 0xfffd
	v_cndmask_b32_e32 v6, v6, v8, vcc_lo
	v_add_co_u32 v2, vcc_lo, v2, s6
	s_wait_alu 0xfffd
	v_add_co_ci_u32_e32 v3, vcc_lo, s7, v3, vcc_lo
	s_delay_alu instid0(VALU_DEP_3) | instskip(SKIP_1) | instid1(VALU_DEP_1)
	v_and_or_b32 v6, 0x8000, v9, v6
	v_and_b32_e32 v4, 0xffff, v4
	v_lshl_or_b32 v4, v6, 16, v4
	v_lshrrev_b32_e32 v6, 16, v5
	global_store_b32 v[2:3], v4, off
	global_load_b32 v4, v28, s[12:13] offset:528
	s_wait_loadcnt 0x0
	v_lshrrev_b32_e32 v7, 16, v4
	s_delay_alu instid0(VALU_DEP_1) | instskip(SKIP_1) | instid1(VALU_DEP_2)
	v_mul_f16_e32 v8, v6, v7
	v_mul_f16_e32 v7, v5, v7
	v_fmac_f16_e32 v8, v5, v4
	s_delay_alu instid0(VALU_DEP_2) | instskip(NEXT) | instid1(VALU_DEP_2)
	v_fma_f16 v4, v4, v6, -v7
	v_cvt_f32_f16_e32 v5, v8
	s_delay_alu instid0(VALU_DEP_2) | instskip(NEXT) | instid1(VALU_DEP_2)
	v_cvt_f32_f16_e32 v6, v4
	v_cvt_f64_f32_e32 v[4:5], v5
	s_delay_alu instid0(VALU_DEP_2) | instskip(NEXT) | instid1(VALU_DEP_2)
	v_cvt_f64_f32_e32 v[6:7], v6
	v_mul_f64_e32 v[4:5], s[8:9], v[4:5]
	s_delay_alu instid0(VALU_DEP_2) | instskip(NEXT) | instid1(VALU_DEP_2)
	v_mul_f64_e32 v[6:7], s[8:9], v[6:7]
	v_and_or_b32 v4, 0x1ff, v5, v4
	s_delay_alu instid0(VALU_DEP_2)
	v_and_or_b32 v6, 0x1ff, v7, v6
	v_lshrrev_b32_e32 v8, 8, v5
	v_bfe_u32 v9, v5, 20, 11
	v_lshrrev_b32_e32 v10, 8, v7
	v_cmp_ne_u32_e32 vcc_lo, 0, v4
	v_bfe_u32 v11, v7, 20, 11
	v_lshrrev_b32_e32 v5, 16, v5
	v_sub_nc_u32_e32 v12, 0x3f1, v9
	v_add_nc_u32_e32 v9, 0xfffffc10, v9
	s_wait_alu 0xfffd
	v_cndmask_b32_e64 v4, 0, 1, vcc_lo
	v_cmp_ne_u32_e32 vcc_lo, 0, v6
	v_lshrrev_b32_e32 v7, 16, v7
	s_delay_alu instid0(VALU_DEP_3) | instskip(SKIP_4) | instid1(VALU_DEP_3)
	v_and_or_b32 v4, 0xffe, v8, v4
	s_wait_alu 0xfffd
	v_cndmask_b32_e64 v6, 0, 1, vcc_lo
	v_sub_nc_u32_e32 v8, 0x3f1, v11
	v_add_nc_u32_e32 v11, 0xfffffc10, v11
	v_and_or_b32 v6, 0xffe, v10, v6
	v_med3_i32 v10, v12, 0, 13
	v_or_b32_e32 v12, 0x1000, v4
	v_med3_i32 v8, v8, 0, 13
	s_delay_alu instid0(VALU_DEP_4) | instskip(NEXT) | instid1(VALU_DEP_3)
	v_or_b32_e32 v13, 0x1000, v6
	v_lshrrev_b32_e32 v14, v10, v12
	s_delay_alu instid0(VALU_DEP_2) | instskip(NEXT) | instid1(VALU_DEP_2)
	v_lshrrev_b32_e32 v15, v8, v13
	v_lshlrev_b32_e32 v10, v10, v14
	s_delay_alu instid0(VALU_DEP_2) | instskip(NEXT) | instid1(VALU_DEP_2)
	v_lshlrev_b32_e32 v8, v8, v15
	v_cmp_ne_u32_e32 vcc_lo, v10, v12
	v_lshl_or_b32 v12, v9, 12, v4
	s_wait_alu 0xfffd
	v_cndmask_b32_e64 v10, 0, 1, vcc_lo
	v_cmp_ne_u32_e32 vcc_lo, v8, v13
	v_lshl_or_b32 v13, v11, 12, v6
	s_delay_alu instid0(VALU_DEP_3) | instskip(SKIP_3) | instid1(VALU_DEP_2)
	v_or_b32_e32 v10, v14, v10
	s_wait_alu 0xfffd
	v_cndmask_b32_e64 v8, 0, 1, vcc_lo
	v_cmp_gt_i32_e32 vcc_lo, 1, v9
	v_or_b32_e32 v8, v15, v8
	s_wait_alu 0xfffd
	v_cndmask_b32_e32 v10, v12, v10, vcc_lo
	v_cmp_gt_i32_e32 vcc_lo, 1, v11
	s_delay_alu instid0(VALU_DEP_2)
	v_and_b32_e32 v12, 7, v10
	s_wait_alu 0xfffd
	v_cndmask_b32_e32 v8, v13, v8, vcc_lo
	v_cmp_ne_u32_e32 vcc_lo, 0, v4
	v_lshrrev_b32_e32 v10, 2, v10
	v_cmp_eq_u32_e64 s0, 3, v12
	s_delay_alu instid0(VALU_DEP_4)
	v_and_b32_e32 v13, 7, v8
	s_wait_alu 0xfffd
	v_cndmask_b32_e64 v4, 0, 1, vcc_lo
	v_cmp_ne_u32_e32 vcc_lo, 0, v6
	v_lshrrev_b32_e32 v8, 2, v8
	v_cmp_lt_i32_e64 s1, 5, v13
	v_cmp_eq_u32_e64 s2, 3, v13
	s_wait_alu 0xfffd
	v_cndmask_b32_e64 v6, 0, 1, vcc_lo
	v_cmp_lt_i32_e32 vcc_lo, 5, v12
	v_lshl_or_b32 v4, v4, 9, 0x7c00
	s_delay_alu instid0(VALU_DEP_3)
	v_lshl_or_b32 v6, v6, 9, 0x7c00
	s_or_b32 vcc_lo, s0, vcc_lo
	s_wait_alu 0xfffe
	v_add_co_ci_u32_e32 v10, vcc_lo, 0, v10, vcc_lo
	s_or_b32 vcc_lo, s2, s1
	s_wait_alu 0xfffe
	v_add_co_ci_u32_e32 v8, vcc_lo, 0, v8, vcc_lo
	v_cmp_gt_i32_e32 vcc_lo, 31, v9
	s_wait_alu 0xfffd
	v_cndmask_b32_e32 v10, 0x7c00, v10, vcc_lo
	v_cmp_gt_i32_e32 vcc_lo, 31, v11
	s_wait_alu 0xfffd
	v_cndmask_b32_e32 v8, 0x7c00, v8, vcc_lo
	v_cmp_eq_u32_e32 vcc_lo, 0x40f, v9
	s_wait_alu 0xfffd
	v_cndmask_b32_e32 v4, v10, v4, vcc_lo
	v_cmp_eq_u32_e32 vcc_lo, 0x40f, v11
	s_delay_alu instid0(VALU_DEP_2)
	v_and_or_b32 v4, 0x8000, v5, v4
	s_wait_alu 0xfffd
	v_cndmask_b32_e32 v6, v8, v6, vcc_lo
	v_add_co_u32 v2, vcc_lo, v2, s6
	s_wait_alu 0xfffd
	v_add_co_ci_u32_e32 v3, vcc_lo, s7, v3, vcc_lo
	s_delay_alu instid0(VALU_DEP_3) | instskip(SKIP_1) | instid1(VALU_DEP_1)
	v_and_or_b32 v5, 0x8000, v7, v6
	v_and_b32_e32 v4, 0xffff, v4
	v_lshl_or_b32 v4, v5, 16, v4
	global_store_b32 v[2:3], v4, off
	global_load_b32 v6, v28, s[12:13] offset:572
	ds_load_2addr_b32 v[4:5], v30 offset0:143 offset1:154
	s_wait_dscnt 0x0
	v_lshrrev_b32_e32 v7, 16, v4
	s_wait_loadcnt 0x0
	v_lshrrev_b32_e32 v8, 16, v6
	s_delay_alu instid0(VALU_DEP_1) | instskip(SKIP_1) | instid1(VALU_DEP_2)
	v_mul_f16_e32 v9, v7, v8
	v_mul_f16_e32 v8, v4, v8
	v_fmac_f16_e32 v9, v4, v6
	s_delay_alu instid0(VALU_DEP_2) | instskip(NEXT) | instid1(VALU_DEP_2)
	v_fma_f16 v4, v6, v7, -v8
	v_cvt_f32_f16_e32 v6, v9
	s_delay_alu instid0(VALU_DEP_2) | instskip(NEXT) | instid1(VALU_DEP_2)
	v_cvt_f32_f16_e32 v4, v4
	v_cvt_f64_f32_e32 v[6:7], v6
	s_delay_alu instid0(VALU_DEP_2) | instskip(NEXT) | instid1(VALU_DEP_2)
	v_cvt_f64_f32_e32 v[8:9], v4
	v_mul_f64_e32 v[6:7], s[8:9], v[6:7]
	s_delay_alu instid0(VALU_DEP_2) | instskip(NEXT) | instid1(VALU_DEP_2)
	v_mul_f64_e32 v[8:9], s[8:9], v[8:9]
	v_and_or_b32 v4, 0x1ff, v7, v6
	s_delay_alu instid0(VALU_DEP_2)
	v_and_or_b32 v8, 0x1ff, v9, v8
	v_lshrrev_b32_e32 v6, 8, v7
	v_bfe_u32 v10, v7, 20, 11
	v_lshrrev_b32_e32 v11, 8, v9
	v_cmp_ne_u32_e32 vcc_lo, 0, v4
	v_bfe_u32 v12, v9, 20, 11
	v_lshrrev_b32_e32 v7, 16, v7
	v_sub_nc_u32_e32 v13, 0x3f1, v10
	v_add_nc_u32_e32 v10, 0xfffffc10, v10
	s_wait_alu 0xfffd
	v_cndmask_b32_e64 v4, 0, 1, vcc_lo
	v_cmp_ne_u32_e32 vcc_lo, 0, v8
	v_lshrrev_b32_e32 v9, 16, v9
	s_delay_alu instid0(VALU_DEP_3) | instskip(SKIP_4) | instid1(VALU_DEP_3)
	v_and_or_b32 v4, 0xffe, v6, v4
	s_wait_alu 0xfffd
	v_cndmask_b32_e64 v8, 0, 1, vcc_lo
	v_sub_nc_u32_e32 v6, 0x3f1, v12
	v_add_nc_u32_e32 v12, 0xfffffc10, v12
	v_and_or_b32 v8, 0xffe, v11, v8
	v_med3_i32 v11, v13, 0, 13
	v_or_b32_e32 v13, 0x1000, v4
	v_med3_i32 v6, v6, 0, 13
	s_delay_alu instid0(VALU_DEP_4) | instskip(NEXT) | instid1(VALU_DEP_3)
	v_or_b32_e32 v14, 0x1000, v8
	v_lshrrev_b32_e32 v15, v11, v13
	s_delay_alu instid0(VALU_DEP_2) | instskip(NEXT) | instid1(VALU_DEP_2)
	v_lshrrev_b32_e32 v16, v6, v14
	v_lshlrev_b32_e32 v11, v11, v15
	s_delay_alu instid0(VALU_DEP_2) | instskip(NEXT) | instid1(VALU_DEP_2)
	v_lshlrev_b32_e32 v6, v6, v16
	v_cmp_ne_u32_e32 vcc_lo, v11, v13
	v_lshl_or_b32 v13, v10, 12, v4
	s_wait_alu 0xfffd
	v_cndmask_b32_e64 v11, 0, 1, vcc_lo
	v_cmp_ne_u32_e32 vcc_lo, v6, v14
	v_lshl_or_b32 v14, v12, 12, v8
	s_delay_alu instid0(VALU_DEP_3) | instskip(SKIP_3) | instid1(VALU_DEP_2)
	v_or_b32_e32 v11, v15, v11
	s_wait_alu 0xfffd
	v_cndmask_b32_e64 v6, 0, 1, vcc_lo
	v_cmp_gt_i32_e32 vcc_lo, 1, v10
	v_or_b32_e32 v6, v16, v6
	s_wait_alu 0xfffd
	v_cndmask_b32_e32 v11, v13, v11, vcc_lo
	v_cmp_gt_i32_e32 vcc_lo, 1, v12
	s_wait_alu 0xfffd
	s_delay_alu instid0(VALU_DEP_2) | instskip(SKIP_2) | instid1(VALU_DEP_3)
	v_dual_cndmask_b32 v6, v14, v6 :: v_dual_and_b32 v13, 7, v11
	v_cmp_ne_u32_e32 vcc_lo, 0, v4
	v_lshrrev_b32_e32 v11, 2, v11
	v_cmp_eq_u32_e64 s0, 3, v13
	s_delay_alu instid0(VALU_DEP_4)
	v_and_b32_e32 v14, 7, v6
	s_wait_alu 0xfffd
	v_cndmask_b32_e64 v4, 0, 1, vcc_lo
	v_cmp_ne_u32_e32 vcc_lo, 0, v8
	v_lshrrev_b32_e32 v6, 2, v6
	v_cmp_lt_i32_e64 s1, 5, v14
	v_cmp_eq_u32_e64 s2, 3, v14
	s_wait_alu 0xfffd
	v_cndmask_b32_e64 v8, 0, 1, vcc_lo
	v_cmp_lt_i32_e32 vcc_lo, 5, v13
	v_lshl_or_b32 v4, v4, 9, 0x7c00
	s_delay_alu instid0(VALU_DEP_3)
	v_lshl_or_b32 v8, v8, 9, 0x7c00
	s_or_b32 vcc_lo, s0, vcc_lo
	s_wait_alu 0xfffe
	v_add_co_ci_u32_e32 v11, vcc_lo, 0, v11, vcc_lo
	s_or_b32 vcc_lo, s2, s1
	s_wait_alu 0xfffe
	v_add_co_ci_u32_e32 v6, vcc_lo, 0, v6, vcc_lo
	v_cmp_gt_i32_e32 vcc_lo, 31, v10
	s_wait_alu 0xfffd
	v_cndmask_b32_e32 v11, 0x7c00, v11, vcc_lo
	v_cmp_gt_i32_e32 vcc_lo, 31, v12
	s_wait_alu 0xfffd
	v_cndmask_b32_e32 v6, 0x7c00, v6, vcc_lo
	v_cmp_eq_u32_e32 vcc_lo, 0x40f, v10
	s_wait_alu 0xfffd
	v_cndmask_b32_e32 v4, v11, v4, vcc_lo
	v_cmp_eq_u32_e32 vcc_lo, 0x40f, v12
	s_delay_alu instid0(VALU_DEP_2)
	v_and_or_b32 v4, 0x8000, v7, v4
	s_wait_alu 0xfffd
	v_cndmask_b32_e32 v6, v6, v8, vcc_lo
	v_add_co_u32 v2, vcc_lo, v2, s6
	s_wait_alu 0xfffd
	v_add_co_ci_u32_e32 v3, vcc_lo, s7, v3, vcc_lo
	s_delay_alu instid0(VALU_DEP_3) | instskip(SKIP_1) | instid1(VALU_DEP_1)
	v_and_or_b32 v6, 0x8000, v9, v6
	v_and_b32_e32 v4, 0xffff, v4
	v_lshl_or_b32 v4, v6, 16, v4
	v_lshrrev_b32_e32 v6, 16, v5
	global_store_b32 v[2:3], v4, off
	global_load_b32 v4, v28, s[12:13] offset:616
	s_wait_loadcnt 0x0
	v_lshrrev_b32_e32 v7, 16, v4
	s_delay_alu instid0(VALU_DEP_1) | instskip(SKIP_1) | instid1(VALU_DEP_2)
	v_mul_f16_e32 v8, v6, v7
	v_mul_f16_e32 v7, v5, v7
	v_fmac_f16_e32 v8, v5, v4
	s_delay_alu instid0(VALU_DEP_2) | instskip(NEXT) | instid1(VALU_DEP_2)
	v_fma_f16 v4, v4, v6, -v7
	v_cvt_f32_f16_e32 v5, v8
	s_delay_alu instid0(VALU_DEP_2) | instskip(NEXT) | instid1(VALU_DEP_2)
	v_cvt_f32_f16_e32 v6, v4
	v_cvt_f64_f32_e32 v[4:5], v5
	s_delay_alu instid0(VALU_DEP_2) | instskip(NEXT) | instid1(VALU_DEP_2)
	v_cvt_f64_f32_e32 v[6:7], v6
	v_mul_f64_e32 v[4:5], s[8:9], v[4:5]
	s_delay_alu instid0(VALU_DEP_2) | instskip(NEXT) | instid1(VALU_DEP_2)
	v_mul_f64_e32 v[6:7], s[8:9], v[6:7]
	v_and_or_b32 v4, 0x1ff, v5, v4
	s_delay_alu instid0(VALU_DEP_2)
	v_and_or_b32 v6, 0x1ff, v7, v6
	v_lshrrev_b32_e32 v8, 8, v5
	v_bfe_u32 v9, v5, 20, 11
	v_lshrrev_b32_e32 v10, 8, v7
	v_cmp_ne_u32_e32 vcc_lo, 0, v4
	v_bfe_u32 v11, v7, 20, 11
	v_lshrrev_b32_e32 v5, 16, v5
	v_sub_nc_u32_e32 v12, 0x3f1, v9
	v_add_nc_u32_e32 v9, 0xfffffc10, v9
	s_wait_alu 0xfffd
	v_cndmask_b32_e64 v4, 0, 1, vcc_lo
	v_cmp_ne_u32_e32 vcc_lo, 0, v6
	v_lshrrev_b32_e32 v7, 16, v7
	s_delay_alu instid0(VALU_DEP_3) | instskip(SKIP_4) | instid1(VALU_DEP_3)
	v_and_or_b32 v4, 0xffe, v8, v4
	s_wait_alu 0xfffd
	v_cndmask_b32_e64 v6, 0, 1, vcc_lo
	v_sub_nc_u32_e32 v8, 0x3f1, v11
	v_add_nc_u32_e32 v11, 0xfffffc10, v11
	v_and_or_b32 v6, 0xffe, v10, v6
	v_med3_i32 v10, v12, 0, 13
	v_or_b32_e32 v12, 0x1000, v4
	v_med3_i32 v8, v8, 0, 13
	s_delay_alu instid0(VALU_DEP_4) | instskip(NEXT) | instid1(VALU_DEP_3)
	v_or_b32_e32 v13, 0x1000, v6
	v_lshrrev_b32_e32 v14, v10, v12
	s_delay_alu instid0(VALU_DEP_2) | instskip(NEXT) | instid1(VALU_DEP_2)
	v_lshrrev_b32_e32 v15, v8, v13
	v_lshlrev_b32_e32 v10, v10, v14
	s_delay_alu instid0(VALU_DEP_2) | instskip(NEXT) | instid1(VALU_DEP_2)
	v_lshlrev_b32_e32 v8, v8, v15
	v_cmp_ne_u32_e32 vcc_lo, v10, v12
	v_lshl_or_b32 v12, v9, 12, v4
	s_wait_alu 0xfffd
	v_cndmask_b32_e64 v10, 0, 1, vcc_lo
	v_cmp_ne_u32_e32 vcc_lo, v8, v13
	v_lshl_or_b32 v13, v11, 12, v6
	s_delay_alu instid0(VALU_DEP_3) | instskip(SKIP_3) | instid1(VALU_DEP_2)
	v_or_b32_e32 v10, v14, v10
	s_wait_alu 0xfffd
	v_cndmask_b32_e64 v8, 0, 1, vcc_lo
	v_cmp_gt_i32_e32 vcc_lo, 1, v9
	v_or_b32_e32 v8, v15, v8
	s_wait_alu 0xfffd
	v_cndmask_b32_e32 v10, v12, v10, vcc_lo
	v_cmp_gt_i32_e32 vcc_lo, 1, v11
	s_delay_alu instid0(VALU_DEP_2)
	v_and_b32_e32 v12, 7, v10
	s_wait_alu 0xfffd
	v_cndmask_b32_e32 v8, v13, v8, vcc_lo
	v_cmp_ne_u32_e32 vcc_lo, 0, v4
	v_lshrrev_b32_e32 v10, 2, v10
	v_cmp_eq_u32_e64 s0, 3, v12
	s_delay_alu instid0(VALU_DEP_4)
	v_and_b32_e32 v13, 7, v8
	s_wait_alu 0xfffd
	v_cndmask_b32_e64 v4, 0, 1, vcc_lo
	v_cmp_ne_u32_e32 vcc_lo, 0, v6
	v_lshrrev_b32_e32 v8, 2, v8
	v_cmp_lt_i32_e64 s1, 5, v13
	v_cmp_eq_u32_e64 s2, 3, v13
	s_wait_alu 0xfffd
	v_cndmask_b32_e64 v6, 0, 1, vcc_lo
	v_cmp_lt_i32_e32 vcc_lo, 5, v12
	v_lshl_or_b32 v4, v4, 9, 0x7c00
	s_delay_alu instid0(VALU_DEP_3)
	v_lshl_or_b32 v6, v6, 9, 0x7c00
	s_or_b32 vcc_lo, s0, vcc_lo
	s_wait_alu 0xfffe
	v_add_co_ci_u32_e32 v10, vcc_lo, 0, v10, vcc_lo
	s_or_b32 vcc_lo, s2, s1
	s_wait_alu 0xfffe
	v_add_co_ci_u32_e32 v8, vcc_lo, 0, v8, vcc_lo
	v_cmp_gt_i32_e32 vcc_lo, 31, v9
	s_wait_alu 0xfffd
	v_cndmask_b32_e32 v10, 0x7c00, v10, vcc_lo
	v_cmp_gt_i32_e32 vcc_lo, 31, v11
	s_wait_alu 0xfffd
	v_cndmask_b32_e32 v8, 0x7c00, v8, vcc_lo
	v_cmp_eq_u32_e32 vcc_lo, 0x40f, v9
	s_wait_alu 0xfffd
	v_cndmask_b32_e32 v4, v10, v4, vcc_lo
	v_cmp_eq_u32_e32 vcc_lo, 0x40f, v11
	s_delay_alu instid0(VALU_DEP_2)
	v_and_or_b32 v4, 0x8000, v5, v4
	s_wait_alu 0xfffd
	v_cndmask_b32_e32 v6, v8, v6, vcc_lo
	v_add_co_u32 v2, vcc_lo, v2, s6
	s_wait_alu 0xfffd
	v_add_co_ci_u32_e32 v3, vcc_lo, s7, v3, vcc_lo
	s_delay_alu instid0(VALU_DEP_3) | instskip(SKIP_1) | instid1(VALU_DEP_1)
	v_and_or_b32 v5, 0x8000, v7, v6
	v_and_b32_e32 v4, 0xffff, v4
	v_lshl_or_b32 v4, v5, 16, v4
	global_store_b32 v[2:3], v4, off
	global_load_b32 v6, v28, s[12:13] offset:660
	ds_load_2addr_b32 v[4:5], v30 offset0:165 offset1:176
	s_wait_dscnt 0x0
	v_lshrrev_b32_e32 v7, 16, v4
	s_wait_loadcnt 0x0
	v_lshrrev_b32_e32 v8, 16, v6
	s_delay_alu instid0(VALU_DEP_1) | instskip(SKIP_1) | instid1(VALU_DEP_2)
	v_mul_f16_e32 v9, v7, v8
	v_mul_f16_e32 v8, v4, v8
	v_fmac_f16_e32 v9, v4, v6
	s_delay_alu instid0(VALU_DEP_2) | instskip(NEXT) | instid1(VALU_DEP_2)
	v_fma_f16 v4, v6, v7, -v8
	v_cvt_f32_f16_e32 v6, v9
	s_delay_alu instid0(VALU_DEP_2) | instskip(NEXT) | instid1(VALU_DEP_2)
	v_cvt_f32_f16_e32 v4, v4
	v_cvt_f64_f32_e32 v[6:7], v6
	s_delay_alu instid0(VALU_DEP_2) | instskip(NEXT) | instid1(VALU_DEP_2)
	v_cvt_f64_f32_e32 v[8:9], v4
	v_mul_f64_e32 v[6:7], s[8:9], v[6:7]
	s_delay_alu instid0(VALU_DEP_2) | instskip(NEXT) | instid1(VALU_DEP_2)
	v_mul_f64_e32 v[8:9], s[8:9], v[8:9]
	v_and_or_b32 v4, 0x1ff, v7, v6
	s_delay_alu instid0(VALU_DEP_2)
	v_and_or_b32 v8, 0x1ff, v9, v8
	v_lshrrev_b32_e32 v6, 8, v7
	v_bfe_u32 v10, v7, 20, 11
	v_lshrrev_b32_e32 v11, 8, v9
	v_cmp_ne_u32_e32 vcc_lo, 0, v4
	v_bfe_u32 v12, v9, 20, 11
	v_lshrrev_b32_e32 v7, 16, v7
	v_sub_nc_u32_e32 v13, 0x3f1, v10
	v_add_nc_u32_e32 v10, 0xfffffc10, v10
	s_wait_alu 0xfffd
	v_cndmask_b32_e64 v4, 0, 1, vcc_lo
	v_cmp_ne_u32_e32 vcc_lo, 0, v8
	v_lshrrev_b32_e32 v9, 16, v9
	s_delay_alu instid0(VALU_DEP_3) | instskip(SKIP_4) | instid1(VALU_DEP_3)
	v_and_or_b32 v4, 0xffe, v6, v4
	s_wait_alu 0xfffd
	v_cndmask_b32_e64 v8, 0, 1, vcc_lo
	v_sub_nc_u32_e32 v6, 0x3f1, v12
	v_add_nc_u32_e32 v12, 0xfffffc10, v12
	v_and_or_b32 v8, 0xffe, v11, v8
	v_med3_i32 v11, v13, 0, 13
	v_or_b32_e32 v13, 0x1000, v4
	v_med3_i32 v6, v6, 0, 13
	s_delay_alu instid0(VALU_DEP_4) | instskip(NEXT) | instid1(VALU_DEP_3)
	v_or_b32_e32 v14, 0x1000, v8
	v_lshrrev_b32_e32 v15, v11, v13
	s_delay_alu instid0(VALU_DEP_2) | instskip(NEXT) | instid1(VALU_DEP_2)
	v_lshrrev_b32_e32 v16, v6, v14
	v_lshlrev_b32_e32 v11, v11, v15
	s_delay_alu instid0(VALU_DEP_2) | instskip(NEXT) | instid1(VALU_DEP_2)
	v_lshlrev_b32_e32 v6, v6, v16
	v_cmp_ne_u32_e32 vcc_lo, v11, v13
	v_lshl_or_b32 v13, v10, 12, v4
	s_wait_alu 0xfffd
	v_cndmask_b32_e64 v11, 0, 1, vcc_lo
	v_cmp_ne_u32_e32 vcc_lo, v6, v14
	v_lshl_or_b32 v14, v12, 12, v8
	s_delay_alu instid0(VALU_DEP_3) | instskip(SKIP_3) | instid1(VALU_DEP_2)
	v_or_b32_e32 v11, v15, v11
	s_wait_alu 0xfffd
	v_cndmask_b32_e64 v6, 0, 1, vcc_lo
	v_cmp_gt_i32_e32 vcc_lo, 1, v10
	v_or_b32_e32 v6, v16, v6
	s_wait_alu 0xfffd
	v_cndmask_b32_e32 v11, v13, v11, vcc_lo
	v_cmp_gt_i32_e32 vcc_lo, 1, v12
	s_wait_alu 0xfffd
	s_delay_alu instid0(VALU_DEP_2) | instskip(SKIP_2) | instid1(VALU_DEP_3)
	v_dual_cndmask_b32 v6, v14, v6 :: v_dual_and_b32 v13, 7, v11
	v_cmp_ne_u32_e32 vcc_lo, 0, v4
	v_lshrrev_b32_e32 v11, 2, v11
	v_cmp_eq_u32_e64 s0, 3, v13
	s_delay_alu instid0(VALU_DEP_4)
	v_and_b32_e32 v14, 7, v6
	s_wait_alu 0xfffd
	v_cndmask_b32_e64 v4, 0, 1, vcc_lo
	v_cmp_ne_u32_e32 vcc_lo, 0, v8
	v_lshrrev_b32_e32 v6, 2, v6
	v_cmp_lt_i32_e64 s1, 5, v14
	v_cmp_eq_u32_e64 s2, 3, v14
	s_wait_alu 0xfffd
	v_cndmask_b32_e64 v8, 0, 1, vcc_lo
	v_cmp_lt_i32_e32 vcc_lo, 5, v13
	v_lshl_or_b32 v4, v4, 9, 0x7c00
	s_delay_alu instid0(VALU_DEP_3)
	v_lshl_or_b32 v8, v8, 9, 0x7c00
	s_or_b32 vcc_lo, s0, vcc_lo
	s_wait_alu 0xfffe
	v_add_co_ci_u32_e32 v11, vcc_lo, 0, v11, vcc_lo
	s_or_b32 vcc_lo, s2, s1
	s_wait_alu 0xfffe
	v_add_co_ci_u32_e32 v6, vcc_lo, 0, v6, vcc_lo
	v_cmp_gt_i32_e32 vcc_lo, 31, v10
	s_wait_alu 0xfffd
	v_cndmask_b32_e32 v11, 0x7c00, v11, vcc_lo
	v_cmp_gt_i32_e32 vcc_lo, 31, v12
	s_wait_alu 0xfffd
	v_cndmask_b32_e32 v6, 0x7c00, v6, vcc_lo
	v_cmp_eq_u32_e32 vcc_lo, 0x40f, v10
	s_wait_alu 0xfffd
	v_cndmask_b32_e32 v4, v11, v4, vcc_lo
	v_cmp_eq_u32_e32 vcc_lo, 0x40f, v12
	s_delay_alu instid0(VALU_DEP_2)
	v_and_or_b32 v4, 0x8000, v7, v4
	s_wait_alu 0xfffd
	v_cndmask_b32_e32 v6, v6, v8, vcc_lo
	v_add_co_u32 v2, vcc_lo, v2, s6
	s_wait_alu 0xfffd
	v_add_co_ci_u32_e32 v3, vcc_lo, s7, v3, vcc_lo
	s_delay_alu instid0(VALU_DEP_3) | instskip(SKIP_1) | instid1(VALU_DEP_1)
	v_and_or_b32 v6, 0x8000, v9, v6
	v_and_b32_e32 v4, 0xffff, v4
	v_lshl_or_b32 v4, v6, 16, v4
	global_store_b32 v[2:3], v4, off
	global_load_b32 v2, v28, s[12:13] offset:704
	v_lshrrev_b32_e32 v3, 16, v5
	s_wait_loadcnt 0x0
	v_lshrrev_b32_e32 v4, 16, v2
	s_delay_alu instid0(VALU_DEP_1) | instskip(SKIP_1) | instid1(VALU_DEP_2)
	v_mul_f16_e32 v6, v3, v4
	v_mul_f16_e32 v4, v5, v4
	v_fmac_f16_e32 v6, v5, v2
	s_delay_alu instid0(VALU_DEP_2) | instskip(NEXT) | instid1(VALU_DEP_2)
	v_fma_f16 v2, v2, v3, -v4
	v_cvt_f32_f16_e32 v3, v6
	s_delay_alu instid0(VALU_DEP_2) | instskip(NEXT) | instid1(VALU_DEP_2)
	v_cvt_f32_f16_e32 v4, v2
	v_cvt_f64_f32_e32 v[2:3], v3
	s_delay_alu instid0(VALU_DEP_2) | instskip(NEXT) | instid1(VALU_DEP_2)
	v_cvt_f64_f32_e32 v[4:5], v4
	v_mul_f64_e32 v[2:3], s[8:9], v[2:3]
	s_delay_alu instid0(VALU_DEP_2) | instskip(NEXT) | instid1(VALU_DEP_2)
	v_mul_f64_e32 v[4:5], s[8:9], v[4:5]
	v_and_or_b32 v2, 0x1ff, v3, v2
	s_delay_alu instid0(VALU_DEP_2)
	v_and_or_b32 v4, 0x1ff, v5, v4
	v_lshrrev_b32_e32 v6, 8, v3
	v_bfe_u32 v8, v3, 20, 11
	v_bfe_u32 v9, v5, 20, 11
	v_cmp_ne_u32_e32 vcc_lo, 0, v2
	v_lshrrev_b32_e32 v7, 8, v5
	v_lshrrev_b32_e32 v5, 16, v5
	v_sub_nc_u32_e32 v10, 0x3f1, v8
	v_sub_nc_u32_e32 v11, 0x3f1, v9
	s_wait_alu 0xfffd
	v_cndmask_b32_e64 v2, 0, 1, vcc_lo
	v_cmp_ne_u32_e32 vcc_lo, 0, v4
	v_add_nc_u32_e32 v9, 0xfffffc10, v9
	s_delay_alu instid0(VALU_DEP_3)
	v_and_or_b32 v12, 0xffe, v6, v2
	s_wait_alu 0xfffd
	v_cndmask_b32_e64 v4, 0, 1, vcc_lo
	v_med3_i32 v2, v10, 0, 13
	v_med3_i32 v10, v11, 0, 13
	v_or_b32_e32 v11, 0x1000, v12
	s_delay_alu instid0(VALU_DEP_4) | instskip(SKIP_1) | instid1(VALU_DEP_3)
	v_and_or_b32 v4, 0xffe, v7, v4
	v_mad_co_u64_u32 v[6:7], null, s4, v27, 0
	v_lshrrev_b32_e32 v14, v2, v11
	s_delay_alu instid0(VALU_DEP_3) | instskip(NEXT) | instid1(VALU_DEP_2)
	v_or_b32_e32 v13, 0x1000, v4
	v_lshlrev_b32_e32 v16, v2, v14
	s_delay_alu instid0(VALU_DEP_2) | instskip(SKIP_1) | instid1(VALU_DEP_3)
	v_lshrrev_b32_e32 v15, v10, v13
	v_mov_b32_e32 v2, v7
	v_cmp_ne_u32_e32 vcc_lo, v16, v11
	s_delay_alu instid0(VALU_DEP_3) | instskip(SKIP_3) | instid1(VALU_DEP_3)
	v_lshlrev_b32_e32 v7, v10, v15
	v_add_nc_u32_e32 v10, 0xfffffc10, v8
	s_wait_alu 0xfffd
	v_cndmask_b32_e64 v11, 0, 1, vcc_lo
	v_cmp_ne_u32_e32 vcc_lo, v7, v13
	v_mad_co_u64_u32 v[7:8], null, s5, v27, v[2:3]
	v_lshl_or_b32 v2, v10, 12, v12
	s_delay_alu instid0(VALU_DEP_4)
	v_or_b32_e32 v8, v14, v11
	s_wait_alu 0xfffd
	v_cndmask_b32_e64 v13, 0, 1, vcc_lo
	v_cmp_gt_i32_e32 vcc_lo, 1, v10
	v_lshl_or_b32 v11, v9, 12, v4
	v_lshrrev_b32_e32 v3, 16, v3
	s_delay_alu instid0(VALU_DEP_4)
	v_or_b32_e32 v13, v15, v13
	s_wait_alu 0xfffd
	v_cndmask_b32_e32 v2, v2, v8, vcc_lo
	v_cmp_gt_i32_e32 vcc_lo, 1, v9
	s_wait_alu 0xfffd
	v_cndmask_b32_e32 v8, v11, v13, vcc_lo
	v_cmp_ne_u32_e32 vcc_lo, 0, v12
	v_and_b32_e32 v12, 7, v2
	v_lshrrev_b32_e32 v2, 2, v2
	s_delay_alu instid0(VALU_DEP_4)
	v_and_b32_e32 v13, 7, v8
	s_wait_alu 0xfffd
	v_cndmask_b32_e64 v11, 0, 1, vcc_lo
	v_cmp_ne_u32_e32 vcc_lo, 0, v4
	v_cmp_eq_u32_e64 s0, 3, v12
	v_lshrrev_b32_e32 v8, 2, v8
	v_cmp_lt_i32_e64 s1, 5, v13
	v_cmp_eq_u32_e64 s2, 3, v13
	s_wait_alu 0xfffd
	v_cndmask_b32_e64 v4, 0, 1, vcc_lo
	v_cmp_lt_i32_e32 vcc_lo, 5, v12
	v_lshl_or_b32 v11, v11, 9, 0x7c00
	s_delay_alu instid0(VALU_DEP_3)
	v_lshl_or_b32 v4, v4, 9, 0x7c00
	s_or_b32 vcc_lo, s0, vcc_lo
	s_wait_alu 0xfffe
	v_add_co_ci_u32_e32 v2, vcc_lo, 0, v2, vcc_lo
	s_or_b32 vcc_lo, s2, s1
	s_wait_alu 0xfffe
	v_add_co_ci_u32_e32 v8, vcc_lo, 0, v8, vcc_lo
	v_cmp_gt_i32_e32 vcc_lo, 31, v10
	s_wait_alu 0xfffd
	v_cndmask_b32_e32 v2, 0x7c00, v2, vcc_lo
	v_cmp_gt_i32_e32 vcc_lo, 31, v9
	s_wait_alu 0xfffd
	v_cndmask_b32_e32 v8, 0x7c00, v8, vcc_lo
	v_cmp_eq_u32_e32 vcc_lo, 0x40f, v10
	s_wait_alu 0xfffd
	v_cndmask_b32_e32 v2, v2, v11, vcc_lo
	v_cmp_eq_u32_e32 vcc_lo, 0x40f, v9
	s_delay_alu instid0(VALU_DEP_2) | instskip(SKIP_2) | instid1(VALU_DEP_1)
	v_and_or_b32 v2, 0x8000, v3, v2
	s_wait_alu 0xfffd
	v_cndmask_b32_e32 v4, v8, v4, vcc_lo
	v_and_or_b32 v4, 0x8000, v5, v4
	s_delay_alu instid0(VALU_DEP_3) | instskip(SKIP_1) | instid1(VALU_DEP_2)
	v_and_b32_e32 v5, 0xffff, v2
	v_lshlrev_b64_e32 v[2:3], 2, v[6:7]
	v_lshl_or_b32 v4, v4, 16, v5
	s_delay_alu instid0(VALU_DEP_2) | instskip(SKIP_1) | instid1(VALU_DEP_3)
	v_add_co_u32 v0, vcc_lo, v0, v2
	s_wait_alu 0xfffd
	v_add_co_ci_u32_e32 v1, vcc_lo, v1, v3, vcc_lo
	global_store_b32 v[0:1], v4, off
.LBB0_15:
	s_nop 0
	s_sendmsg sendmsg(MSG_DEALLOC_VGPRS)
	s_endpgm
	.section	.rodata,"a",@progbits
	.p2align	6, 0x0
	.amdhsa_kernel bluestein_single_fwd_len187_dim1_half_op_CI_CI
		.amdhsa_group_segment_fixed_size 5236
		.amdhsa_private_segment_fixed_size 0
		.amdhsa_kernarg_size 104
		.amdhsa_user_sgpr_count 2
		.amdhsa_user_sgpr_dispatch_ptr 0
		.amdhsa_user_sgpr_queue_ptr 0
		.amdhsa_user_sgpr_kernarg_segment_ptr 1
		.amdhsa_user_sgpr_dispatch_id 0
		.amdhsa_user_sgpr_private_segment_size 0
		.amdhsa_wavefront_size32 1
		.amdhsa_uses_dynamic_stack 0
		.amdhsa_enable_private_segment 0
		.amdhsa_system_sgpr_workgroup_id_x 1
		.amdhsa_system_sgpr_workgroup_id_y 0
		.amdhsa_system_sgpr_workgroup_id_z 0
		.amdhsa_system_sgpr_workgroup_info 0
		.amdhsa_system_vgpr_workitem_id 0
		.amdhsa_next_free_vgpr 226
		.amdhsa_next_free_sgpr 16
		.amdhsa_reserve_vcc 1
		.amdhsa_float_round_mode_32 0
		.amdhsa_float_round_mode_16_64 0
		.amdhsa_float_denorm_mode_32 3
		.amdhsa_float_denorm_mode_16_64 3
		.amdhsa_fp16_overflow 0
		.amdhsa_workgroup_processor_mode 1
		.amdhsa_memory_ordered 1
		.amdhsa_forward_progress 0
		.amdhsa_round_robin_scheduling 0
		.amdhsa_exception_fp_ieee_invalid_op 0
		.amdhsa_exception_fp_denorm_src 0
		.amdhsa_exception_fp_ieee_div_zero 0
		.amdhsa_exception_fp_ieee_overflow 0
		.amdhsa_exception_fp_ieee_underflow 0
		.amdhsa_exception_fp_ieee_inexact 0
		.amdhsa_exception_int_div_zero 0
	.end_amdhsa_kernel
	.text
.Lfunc_end0:
	.size	bluestein_single_fwd_len187_dim1_half_op_CI_CI, .Lfunc_end0-bluestein_single_fwd_len187_dim1_half_op_CI_CI
                                        ; -- End function
	.section	.AMDGPU.csdata,"",@progbits
; Kernel info:
; codeLenInByte = 33468
; NumSgprs: 18
; NumVgprs: 226
; ScratchSize: 0
; MemoryBound: 0
; FloatMode: 240
; IeeeMode: 1
; LDSByteSize: 5236 bytes/workgroup (compile time only)
; SGPRBlocks: 2
; VGPRBlocks: 28
; NumSGPRsForWavesPerEU: 18
; NumVGPRsForWavesPerEU: 226
; Occupancy: 6
; WaveLimiterHint : 1
; COMPUTE_PGM_RSRC2:SCRATCH_EN: 0
; COMPUTE_PGM_RSRC2:USER_SGPR: 2
; COMPUTE_PGM_RSRC2:TRAP_HANDLER: 0
; COMPUTE_PGM_RSRC2:TGID_X_EN: 1
; COMPUTE_PGM_RSRC2:TGID_Y_EN: 0
; COMPUTE_PGM_RSRC2:TGID_Z_EN: 0
; COMPUTE_PGM_RSRC2:TIDIG_COMP_CNT: 0
	.text
	.p2alignl 7, 3214868480
	.fill 96, 4, 3214868480
	.type	__hip_cuid_53e0f66ba7dd518f,@object ; @__hip_cuid_53e0f66ba7dd518f
	.section	.bss,"aw",@nobits
	.globl	__hip_cuid_53e0f66ba7dd518f
__hip_cuid_53e0f66ba7dd518f:
	.byte	0                               ; 0x0
	.size	__hip_cuid_53e0f66ba7dd518f, 1

	.ident	"AMD clang version 19.0.0git (https://github.com/RadeonOpenCompute/llvm-project roc-6.4.0 25133 c7fe45cf4b819c5991fe208aaa96edf142730f1d)"
	.section	".note.GNU-stack","",@progbits
	.addrsig
	.addrsig_sym __hip_cuid_53e0f66ba7dd518f
	.amdgpu_metadata
---
amdhsa.kernels:
  - .args:
      - .actual_access:  read_only
        .address_space:  global
        .offset:         0
        .size:           8
        .value_kind:     global_buffer
      - .actual_access:  read_only
        .address_space:  global
        .offset:         8
        .size:           8
        .value_kind:     global_buffer
      - .actual_access:  read_only
        .address_space:  global
        .offset:         16
        .size:           8
        .value_kind:     global_buffer
      - .actual_access:  read_only
        .address_space:  global
        .offset:         24
        .size:           8
        .value_kind:     global_buffer
      - .actual_access:  read_only
        .address_space:  global
        .offset:         32
        .size:           8
        .value_kind:     global_buffer
      - .offset:         40
        .size:           8
        .value_kind:     by_value
      - .address_space:  global
        .offset:         48
        .size:           8
        .value_kind:     global_buffer
      - .address_space:  global
        .offset:         56
        .size:           8
        .value_kind:     global_buffer
      - .address_space:  global
        .offset:         64
        .size:           8
        .value_kind:     global_buffer
      - .address_space:  global
        .offset:         72
        .size:           8
        .value_kind:     global_buffer
      - .offset:         80
        .size:           4
        .value_kind:     by_value
      - .address_space:  global
        .offset:         88
        .size:           8
        .value_kind:     global_buffer
      - .address_space:  global
        .offset:         96
        .size:           8
        .value_kind:     global_buffer
    .group_segment_fixed_size: 5236
    .kernarg_segment_align: 8
    .kernarg_segment_size: 104
    .language:       OpenCL C
    .language_version:
      - 2
      - 0
    .max_flat_workgroup_size: 119
    .name:           bluestein_single_fwd_len187_dim1_half_op_CI_CI
    .private_segment_fixed_size: 0
    .sgpr_count:     18
    .sgpr_spill_count: 0
    .symbol:         bluestein_single_fwd_len187_dim1_half_op_CI_CI.kd
    .uniform_work_group_size: 1
    .uses_dynamic_stack: false
    .vgpr_count:     226
    .vgpr_spill_count: 0
    .wavefront_size: 32
    .workgroup_processor_mode: 1
amdhsa.target:   amdgcn-amd-amdhsa--gfx1201
amdhsa.version:
  - 1
  - 2
...

	.end_amdgpu_metadata
